;; amdgpu-corpus repo=ROCm/rocFFT kind=compiled arch=gfx906 opt=O3
	.text
	.amdgcn_target "amdgcn-amd-amdhsa--gfx906"
	.amdhsa_code_object_version 6
	.protected	fft_rtc_back_len1904_factors_17_2_2_7_4_wgs_119_tpt_119_halfLds_half_op_CI_CI_unitstride_sbrr_dirReg ; -- Begin function fft_rtc_back_len1904_factors_17_2_2_7_4_wgs_119_tpt_119_halfLds_half_op_CI_CI_unitstride_sbrr_dirReg
	.globl	fft_rtc_back_len1904_factors_17_2_2_7_4_wgs_119_tpt_119_halfLds_half_op_CI_CI_unitstride_sbrr_dirReg
	.p2align	8
	.type	fft_rtc_back_len1904_factors_17_2_2_7_4_wgs_119_tpt_119_halfLds_half_op_CI_CI_unitstride_sbrr_dirReg,@function
fft_rtc_back_len1904_factors_17_2_2_7_4_wgs_119_tpt_119_halfLds_half_op_CI_CI_unitstride_sbrr_dirReg: ; @fft_rtc_back_len1904_factors_17_2_2_7_4_wgs_119_tpt_119_halfLds_half_op_CI_CI_unitstride_sbrr_dirReg
; %bb.0:
	s_load_dwordx4 s[8:11], s[4:5], 0x58
	s_load_dwordx4 s[12:15], s[4:5], 0x0
	;; [unrolled: 1-line block ×3, first 2 shown]
	v_mul_u32_u24_e32 v1, 0x227, v0
	v_mov_b32_e32 v3, 0
	v_mov_b32_e32 v7, 0
	s_waitcnt lgkmcnt(0)
	v_cmp_lt_u64_e64 s[0:1], s[14:15], 2
	v_add_u32_sdwa v9, s6, v1 dst_sel:DWORD dst_unused:UNUSED_PAD src0_sel:DWORD src1_sel:WORD_1
	v_mov_b32_e32 v10, v3
	s_and_b64 vcc, exec, s[0:1]
	v_mov_b32_e32 v8, 0
	s_cbranch_vccnz .LBB0_8
; %bb.1:
	s_load_dwordx2 s[0:1], s[4:5], 0x10
	s_add_u32 s2, s18, 8
	s_addc_u32 s3, s19, 0
	s_add_u32 s6, s16, 8
	s_addc_u32 s7, s17, 0
	v_mov_b32_e32 v7, 0
	s_waitcnt lgkmcnt(0)
	s_add_u32 s20, s0, 8
	v_mov_b32_e32 v8, 0
	v_mov_b32_e32 v1, v7
	s_addc_u32 s21, s1, 0
	s_mov_b64 s[22:23], 1
	v_mov_b32_e32 v2, v8
.LBB0_2:                                ; =>This Inner Loop Header: Depth=1
	s_load_dwordx2 s[24:25], s[20:21], 0x0
                                        ; implicit-def: $vgpr5_vgpr6
	s_waitcnt lgkmcnt(0)
	v_or_b32_e32 v4, s25, v10
	v_cmp_ne_u64_e32 vcc, 0, v[3:4]
	s_and_saveexec_b64 s[0:1], vcc
	s_xor_b64 s[26:27], exec, s[0:1]
	s_cbranch_execz .LBB0_4
; %bb.3:                                ;   in Loop: Header=BB0_2 Depth=1
	v_cvt_f32_u32_e32 v4, s24
	v_cvt_f32_u32_e32 v5, s25
	s_sub_u32 s0, 0, s24
	s_subb_u32 s1, 0, s25
	v_mac_f32_e32 v4, 0x4f800000, v5
	v_rcp_f32_e32 v4, v4
	v_mul_f32_e32 v4, 0x5f7ffffc, v4
	v_mul_f32_e32 v5, 0x2f800000, v4
	v_trunc_f32_e32 v5, v5
	v_mac_f32_e32 v4, 0xcf800000, v5
	v_cvt_u32_f32_e32 v5, v5
	v_cvt_u32_f32_e32 v4, v4
	v_mul_lo_u32 v6, s0, v5
	v_mul_hi_u32 v11, s0, v4
	v_mul_lo_u32 v13, s1, v4
	v_mul_lo_u32 v12, s0, v4
	v_add_u32_e32 v6, v11, v6
	v_add_u32_e32 v6, v6, v13
	v_mul_hi_u32 v11, v4, v12
	v_mul_lo_u32 v13, v4, v6
	v_mul_hi_u32 v15, v4, v6
	v_mul_hi_u32 v14, v5, v12
	v_mul_lo_u32 v12, v5, v12
	v_mul_hi_u32 v16, v5, v6
	v_add_co_u32_e32 v11, vcc, v11, v13
	v_addc_co_u32_e32 v13, vcc, 0, v15, vcc
	v_mul_lo_u32 v6, v5, v6
	v_add_co_u32_e32 v11, vcc, v11, v12
	v_addc_co_u32_e32 v11, vcc, v13, v14, vcc
	v_addc_co_u32_e32 v12, vcc, 0, v16, vcc
	v_add_co_u32_e32 v6, vcc, v11, v6
	v_addc_co_u32_e32 v11, vcc, 0, v12, vcc
	v_add_co_u32_e32 v4, vcc, v4, v6
	v_addc_co_u32_e32 v5, vcc, v5, v11, vcc
	v_mul_lo_u32 v6, s0, v5
	v_mul_hi_u32 v11, s0, v4
	v_mul_lo_u32 v12, s1, v4
	v_mul_lo_u32 v13, s0, v4
	v_add_u32_e32 v6, v11, v6
	v_add_u32_e32 v6, v6, v12
	v_mul_lo_u32 v14, v4, v6
	v_mul_hi_u32 v15, v4, v13
	v_mul_hi_u32 v16, v4, v6
	v_mul_hi_u32 v12, v5, v13
	v_mul_lo_u32 v13, v5, v13
	v_mul_hi_u32 v11, v5, v6
	v_add_co_u32_e32 v14, vcc, v15, v14
	v_addc_co_u32_e32 v15, vcc, 0, v16, vcc
	v_mul_lo_u32 v6, v5, v6
	v_add_co_u32_e32 v13, vcc, v14, v13
	v_addc_co_u32_e32 v12, vcc, v15, v12, vcc
	v_addc_co_u32_e32 v11, vcc, 0, v11, vcc
	v_add_co_u32_e32 v6, vcc, v12, v6
	v_addc_co_u32_e32 v11, vcc, 0, v11, vcc
	v_add_co_u32_e32 v6, vcc, v4, v6
	v_addc_co_u32_e32 v11, vcc, v5, v11, vcc
	v_mad_u64_u32 v[4:5], s[0:1], v9, v11, 0
	v_mul_hi_u32 v12, v9, v6
	v_add_co_u32_e32 v13, vcc, v12, v4
	v_addc_co_u32_e32 v14, vcc, 0, v5, vcc
	v_mad_u64_u32 v[4:5], s[0:1], v10, v6, 0
	v_mad_u64_u32 v[11:12], s[0:1], v10, v11, 0
	v_add_co_u32_e32 v4, vcc, v13, v4
	v_addc_co_u32_e32 v4, vcc, v14, v5, vcc
	v_addc_co_u32_e32 v5, vcc, 0, v12, vcc
	v_add_co_u32_e32 v11, vcc, v4, v11
	v_addc_co_u32_e32 v6, vcc, 0, v5, vcc
	v_mul_lo_u32 v12, s25, v11
	v_mul_lo_u32 v13, s24, v6
	v_mad_u64_u32 v[4:5], s[0:1], s24, v11, 0
	v_add3_u32 v5, v5, v13, v12
	v_sub_u32_e32 v12, v10, v5
	v_mov_b32_e32 v13, s25
	v_sub_co_u32_e32 v4, vcc, v9, v4
	v_subb_co_u32_e64 v12, s[0:1], v12, v13, vcc
	v_subrev_co_u32_e64 v13, s[0:1], s24, v4
	v_subbrev_co_u32_e64 v12, s[0:1], 0, v12, s[0:1]
	v_cmp_le_u32_e64 s[0:1], s25, v12
	v_cndmask_b32_e64 v14, 0, -1, s[0:1]
	v_cmp_le_u32_e64 s[0:1], s24, v13
	v_cndmask_b32_e64 v13, 0, -1, s[0:1]
	v_cmp_eq_u32_e64 s[0:1], s25, v12
	v_cndmask_b32_e64 v12, v14, v13, s[0:1]
	v_add_co_u32_e64 v13, s[0:1], 2, v11
	v_addc_co_u32_e64 v14, s[0:1], 0, v6, s[0:1]
	v_add_co_u32_e64 v15, s[0:1], 1, v11
	v_addc_co_u32_e64 v16, s[0:1], 0, v6, s[0:1]
	v_subb_co_u32_e32 v5, vcc, v10, v5, vcc
	v_cmp_ne_u32_e64 s[0:1], 0, v12
	v_cmp_le_u32_e32 vcc, s25, v5
	v_cndmask_b32_e64 v12, v16, v14, s[0:1]
	v_cndmask_b32_e64 v14, 0, -1, vcc
	v_cmp_le_u32_e32 vcc, s24, v4
	v_cndmask_b32_e64 v4, 0, -1, vcc
	v_cmp_eq_u32_e32 vcc, s25, v5
	v_cndmask_b32_e32 v4, v14, v4, vcc
	v_cmp_ne_u32_e32 vcc, 0, v4
	v_cndmask_b32_e64 v4, v15, v13, s[0:1]
	v_cndmask_b32_e32 v6, v6, v12, vcc
	v_cndmask_b32_e32 v5, v11, v4, vcc
.LBB0_4:                                ;   in Loop: Header=BB0_2 Depth=1
	s_andn2_saveexec_b64 s[0:1], s[26:27]
	s_cbranch_execz .LBB0_6
; %bb.5:                                ;   in Loop: Header=BB0_2 Depth=1
	v_cvt_f32_u32_e32 v4, s24
	s_sub_i32 s26, 0, s24
	v_rcp_iflag_f32_e32 v4, v4
	v_mul_f32_e32 v4, 0x4f7ffffe, v4
	v_cvt_u32_f32_e32 v4, v4
	v_mul_lo_u32 v5, s26, v4
	v_mul_hi_u32 v5, v4, v5
	v_add_u32_e32 v4, v4, v5
	v_mul_hi_u32 v4, v9, v4
	v_mul_lo_u32 v5, v4, s24
	v_add_u32_e32 v6, 1, v4
	v_sub_u32_e32 v5, v9, v5
	v_subrev_u32_e32 v11, s24, v5
	v_cmp_le_u32_e32 vcc, s24, v5
	v_cndmask_b32_e32 v5, v5, v11, vcc
	v_cndmask_b32_e32 v4, v4, v6, vcc
	v_add_u32_e32 v6, 1, v4
	v_cmp_le_u32_e32 vcc, s24, v5
	v_cndmask_b32_e32 v5, v4, v6, vcc
	v_mov_b32_e32 v6, v3
.LBB0_6:                                ;   in Loop: Header=BB0_2 Depth=1
	s_or_b64 exec, exec, s[0:1]
	v_mul_lo_u32 v4, v6, s24
	v_mul_lo_u32 v13, v5, s25
	v_mad_u64_u32 v[11:12], s[0:1], v5, s24, 0
	s_load_dwordx2 s[0:1], s[6:7], 0x0
	s_load_dwordx2 s[24:25], s[2:3], 0x0
	v_add3_u32 v4, v12, v13, v4
	v_sub_co_u32_e32 v9, vcc, v9, v11
	v_subb_co_u32_e32 v4, vcc, v10, v4, vcc
	s_waitcnt lgkmcnt(0)
	v_mul_lo_u32 v10, s0, v4
	v_mul_lo_u32 v11, s1, v9
	v_mad_u64_u32 v[7:8], s[0:1], s0, v9, v[7:8]
	s_add_u32 s22, s22, 1
	s_addc_u32 s23, s23, 0
	s_add_u32 s2, s2, 8
	v_mul_lo_u32 v4, s24, v4
	v_mul_lo_u32 v12, s25, v9
	v_mad_u64_u32 v[1:2], s[0:1], s24, v9, v[1:2]
	v_add3_u32 v8, v11, v8, v10
	s_addc_u32 s3, s3, 0
	v_mov_b32_e32 v9, s14
	s_add_u32 s6, s6, 8
	v_mov_b32_e32 v10, s15
	s_addc_u32 s7, s7, 0
	v_cmp_ge_u64_e32 vcc, s[22:23], v[9:10]
	s_add_u32 s20, s20, 8
	v_add3_u32 v2, v12, v2, v4
	s_addc_u32 s21, s21, 0
	s_cbranch_vccnz .LBB0_9
; %bb.7:                                ;   in Loop: Header=BB0_2 Depth=1
	v_mov_b32_e32 v10, v6
	v_mov_b32_e32 v9, v5
	s_branch .LBB0_2
.LBB0_8:
	v_mov_b32_e32 v1, v7
	v_mov_b32_e32 v5, v9
	;; [unrolled: 1-line block ×4, first 2 shown]
.LBB0_9:
	s_load_dwordx2 s[0:1], s[4:5], 0x28
	s_mov_b32 s4, 0x226b903
	v_mul_hi_u32 v3, v0, s4
	s_lshl_b64 s[2:3], s[14:15], 3
	s_add_u32 s4, s18, s2
	s_waitcnt lgkmcnt(0)
	v_cmp_gt_u64_e32 vcc, s[0:1], v[5:6]
	v_mul_u32_u24_e32 v3, 0x77, v3
	v_sub_u32_e32 v3, v0, v3
	s_movk_i32 s0, 0x70
	v_cmp_gt_u32_e64 s[0:1], s0, v3
	s_addc_u32 s5, s19, s3
	s_and_b64 s[14:15], vcc, s[0:1]
	v_mov_b32_e32 v10, 0
	v_mov_b32_e32 v34, 0
                                        ; implicit-def: $vgpr11
                                        ; implicit-def: $vgpr0
                                        ; implicit-def: $vgpr12
                                        ; implicit-def: $vgpr9
                                        ; implicit-def: $vgpr13
                                        ; implicit-def: $vgpr27
                                        ; implicit-def: $vgpr14
                                        ; implicit-def: $vgpr28
                                        ; implicit-def: $vgpr15
                                        ; implicit-def: $vgpr29
                                        ; implicit-def: $vgpr16
                                        ; implicit-def: $vgpr30
                                        ; implicit-def: $vgpr17
                                        ; implicit-def: $vgpr31
                                        ; implicit-def: $vgpr18
                                        ; implicit-def: $vgpr32
                                        ; implicit-def: $vgpr19
                                        ; implicit-def: $vgpr33
                                        ; implicit-def: $vgpr20
                                        ; implicit-def: $vgpr35
                                        ; implicit-def: $vgpr21
                                        ; implicit-def: $vgpr36
                                        ; implicit-def: $vgpr22
                                        ; implicit-def: $vgpr37
                                        ; implicit-def: $vgpr23
                                        ; implicit-def: $vgpr38
                                        ; implicit-def: $vgpr24
                                        ; implicit-def: $vgpr39
                                        ; implicit-def: $vgpr25
                                        ; implicit-def: $vgpr40
                                        ; implicit-def: $vgpr26
                                        ; implicit-def: $vgpr41
	s_and_saveexec_b64 s[6:7], s[14:15]
	s_cbranch_execz .LBB0_11
; %bb.10:
	s_add_u32 s2, s16, s2
	s_addc_u32 s3, s17, s3
	s_load_dwordx2 s[2:3], s[2:3], 0x0
	v_mov_b32_e32 v12, s9
	v_lshlrev_b64 v[7:8], 2, v[7:8]
	v_mov_b32_e32 v4, 0
	s_waitcnt lgkmcnt(0)
	v_mul_lo_u32 v0, s3, v5
	v_mul_lo_u32 v11, s2, v6
	v_mad_u64_u32 v[9:10], s[2:3], s2, v5, 0
	v_add3_u32 v10, v10, v11, v0
	v_lshlrev_b64 v[9:10], 2, v[9:10]
	v_add_co_u32_e64 v0, s[2:3], s8, v9
	v_addc_co_u32_e64 v9, s[2:3], v12, v10, s[2:3]
	v_add_co_u32_e64 v12, s[2:3], v0, v7
	v_addc_co_u32_e64 v13, s[2:3], v9, v8, s[2:3]
	v_lshlrev_b64 v[7:8], 2, v[3:4]
	v_add_co_u32_e64 v7, s[2:3], v12, v7
	v_addc_co_u32_e64 v8, s[2:3], v13, v8, s[2:3]
	s_movk_i32 s2, 0x1000
	v_add_co_u32_e64 v10, s[2:3], s2, v7
	global_load_dword v34, v[7:8], off
	global_load_dword v0, v[7:8], off offset:448
	global_load_dword v9, v[7:8], off offset:896
	;; [unrolled: 1-line block ×7, first 2 shown]
	v_addc_co_u32_e64 v11, s[2:3], 0, v8, s[2:3]
	global_load_dword v32, v[7:8], off offset:3584
	global_load_dword v33, v[7:8], off offset:4032
	;; [unrolled: 1-line block ×8, first 2 shown]
	v_or_b32_e32 v7, 0x700, v3
	v_mov_b32_e32 v8, v4
	v_lshlrev_b64 v[7:8], 2, v[7:8]
	v_add_co_u32_e64 v7, s[2:3], v12, v7
	v_addc_co_u32_e64 v8, s[2:3], v13, v8, s[2:3]
	global_load_dword v41, v[7:8], off
	s_waitcnt vmcnt(16)
	v_lshrrev_b32_e32 v10, 16, v34
	s_waitcnt vmcnt(15)
	v_lshrrev_b32_e32 v11, 16, v0
	;; [unrolled: 2-line block ×17, first 2 shown]
.LBB0_11:
	s_or_b64 exec, exec, s[6:7]
	v_sub_f16_e32 v8, v11, v26
	v_add_f16_e32 v7, v0, v41
	s_movk_i32 s2, 0x3b76
	v_mul_f16_e32 v56, 0xb5c8, v8
	v_sub_f16_e32 v44, v12, v25
	v_fma_f16 v4, v7, s2, -v56
	v_add_f16_e32 v42, v9, v40
	s_movk_i32 s2, 0x39e9
	v_mul_f16_e32 v57, 0xb964, v44
	v_add_f16_e32 v4, v34, v4
	v_fma_f16 v43, v42, s2, -v57
	v_sub_f16_e32 v45, v13, v24
	v_add_f16_e32 v4, v43, v4
	v_add_f16_e32 v43, v27, v39
	s_movk_i32 s2, 0x3722
	v_mul_f16_e32 v58, 0xbb29, v45
	v_fma_f16 v46, v43, s2, -v58
	v_sub_f16_e32 v47, v14, v23
	v_add_f16_e32 v4, v46, v4
	v_add_f16_e32 v46, v28, v38
	s_movk_i32 s2, 0x2de8
	v_mul_f16_e32 v59, 0xbbf7, v47
	v_fma_f16 v48, v46, s2, -v59
	v_sub_f16_e32 v49, v15, v22
	v_add_f16_e32 v4, v48, v4
	s_mov_b32 s2, 0xb461
	v_add_f16_e32 v48, v29, v37
	v_mul_f16_e32 v60, 0xbbb2, v49
	v_fma_f16 v50, v48, s2, -v60
	v_sub_f16_e32 v51, v16, v21
	v_add_f16_e32 v4, v50, v4
	s_mov_b32 s2, 0xb8d2
	v_add_f16_e32 v50, v30, v36
	;; [unrolled: 6-line block ×4, first 2 shown]
	v_mul_f16_e32 v63, 0xb1e1, v55
	v_fma_f16 v64, v54, s2, -v63
	v_add_f16_e32 v4, v64, v4
	s_mov_b32 s6, 0xb5c8
	s_mov_b32 s7, 0xbb29
	;; [unrolled: 1-line block ×6, first 2 shown]
	s_and_saveexec_b64 s[2:3], s[0:1]
	s_cbranch_execz .LBB0_13
; %bb.12:
	s_mov_b32 s20, 0x372239e9
	v_pk_mul_f16 v75, v7, s20 op_sel_hi:[0,1]
	s_mov_b32 s20, 0xb8d22de8
	s_mov_b32 s29, 0xbb29b964
	v_pk_mul_f16 v76, v42, s20 op_sel_hi:[0,1]
	s_mov_b32 s20, 0xbbddb8d2
	s_mov_b32 s30, 0xba62bbf7
	v_pk_fma_f16 v65, v8, s29, v75 op_sel_hi:[0,1,1]
	v_pk_mul_f16 v77, v43, s20 op_sel_hi:[0,1]
	s_mov_b32 s20, 0xb461bbdd
	v_pk_add_f16 v65, v34, v65 op_sel_hi:[0,1]
	v_pk_fma_f16 v66, v44, s30, v76 op_sel_hi:[0,1,1]
	s_mov_b32 s30, 0x31e1ba62
	v_pk_mul_f16 v78, v46, s20 op_sel_hi:[0,1]
	s_mov_b32 s20, 0x39e9bacd
	s_mov_b32 s27, 0xb4612de8
	v_pk_add_f16 v65, v66, v65
	v_pk_fma_f16 v90, v45, s30, v77 op_sel_hi:[0,1,1]
	s_mov_b32 s31, 0x3bb2b1e1
	v_pk_mul_f16 v79, v48, s20 op_sel_hi:[0,1]
	s_mov_b32 s20, 0x3b76b461
	v_pk_mul_f16 v64, v7, s27 op_sel_hi:[0,1]
	s_mov_b32 s27, 0xbbb2bbf7
	s_mov_b32 s28, 0xbacdbbdd
	v_pk_add_f16 v65, v90, v65
	v_pk_fma_f16 v91, v47, s31, v78 op_sel_hi:[0,1,1]
	s_mov_b32 s33, 0x39643836
	v_pk_mul_f16 v80, v50, s20 op_sel_hi:[0,1]
	s_mov_b32 s20, 0x2de83722
	v_pk_mul_f16 v66, v42, s28 op_sel_hi:[0,1]
	s_mov_b32 s28, 0x3836b1e1
	s_mov_b32 s29, 0x39e9b461
	v_pk_add_f16 v65, v91, v65
	v_pk_fma_f16 v92, v49, s33, v79 op_sel_hi:[0,1,1]
	s_mov_b32 s33, 0xb5c83bb2
	v_pk_fma_f16 v64, v8, s27, v64 op_sel_hi:[0,1,1]
	v_pk_mul_f16 v81, v52, s20 op_sel_hi:[0,1]
	v_pk_mul_f16 v90, v43, s29 op_sel_hi:[0,1]
	s_mov_b32 s29, 0x39643bb2
	s_mov_b32 s30, 0x37223b76
	v_pk_add_f16 v65, v92, v65
	v_pk_fma_f16 v92, v51, s33, v80 op_sel_hi:[0,1,1]
	s_mov_b32 s33, 0xbbf73b29
	v_pk_add_f16 v64, v34, v64 op_sel_hi:[0,1]
	v_pk_fma_f16 v66, v44, s28, v66 op_sel_hi:[0,1,1]
	v_pk_mul_f16 v91, v46, s30 op_sel_hi:[0,1]
	s_mov_b32 s30, 0xbb2935c8
	s_mov_b32 s31, 0xbbdd3722
	v_pk_add_f16 v65, v92, v65
	v_pk_fma_f16 v92, v53, s33, v81 op_sel_hi:[0,1,1]
	v_pk_add_f16 v64, v66, v64
	v_pk_fma_f16 v90, v45, s29, v90 op_sel_hi:[0,1,1]
	v_pk_add_f16 v65, v92, v65
	v_pk_mul_f16 v92, v48, s31 op_sel_hi:[0,1]
	s_mov_b32 s31, 0xb1e1bb29
	s_mov_b32 s33, 0x2de8bacd
	v_pk_add_f16 v64, v90, v64
	v_pk_fma_f16 v91, v47, s30, v91 op_sel_hi:[0,1,1]
	s_mov_b32 s20, 0xbacd3b76
	v_pk_mul_f16 v66, v50, s33 op_sel_hi:[0,1]
	s_mov_b32 s27, 0x3bf7b836
	s_mov_b32 s28, 0x3b76b8d2
	v_pk_add_f16 v64, v91, v64
	v_pk_fma_f16 v92, v49, s31, v92 op_sel_hi:[0,1,1]
	v_pk_mul_f16 v82, v54, s20 op_sel_hi:[0,1]
	v_pk_mul_f16 v90, v52, s28 op_sel_hi:[0,1]
	s_mov_b32 s28, 0xb5c83a62
	s_mov_b32 s29, 0xb8d239e9
	;; [unrolled: 1-line block ×3, first 2 shown]
	v_pk_add_f16 v64, v92, v64
	v_pk_fma_f16 v66, v51, s27, v66 op_sel_hi:[0,1,1]
	s_mov_b32 s15, 0xbacdb8d2
	v_pk_mul_f16 v91, v54, s29 op_sel_hi:[0,1]
	s_mov_b32 s29, 0xba623964
	v_pk_fma_f16 v92, v55, s30, v82 op_sel_hi:[0,1,1]
	v_pk_add_f16 v64, v66, v64
	v_pk_fma_f16 v66, v53, s28, v90 op_sel_hi:[0,1,1]
	v_pk_mul_f16 v74, v7, s15 op_sel_hi:[0,1]
	s_mov_b32 s15, 0xb836ba62
	s_mov_b32 s20, 0x3722b461
	v_pk_add_f16 v66, v66, v64
	v_pk_add_f16 v64, v92, v65
	v_pk_fma_f16 v65, v55, s29, v91 op_sel_hi:[0,1,1]
	v_pk_mul_f16 v83, v42, s20 op_sel_hi:[0,1]
	s_mov_b32 s20, 0x3b293bb2
	s_mov_b32 s21, 0x2de83b76
	v_pk_add_f16 v65, v65, v66
	v_pk_fma_f16 v66, v8, s15, v74 op_sel_hi:[0,1,1]
	v_pk_mul_f16 v84, v43, s21 op_sel_hi:[0,1]
	s_mov_b32 s24, 0xbbf7b5c8
	s_mov_b32 s21, 0xb8d2bacd
	v_pk_add_f16 v66, v34, v66 op_sel_hi:[0,1]
	v_pk_fma_f16 v90, v44, s20, v83 op_sel_hi:[0,1,1]
	v_pk_mul_f16 v85, v46, s21 op_sel_hi:[0,1]
	s_mov_b32 s25, 0x3a62b836
	s_mov_b32 s21, 0x3b762de8
	v_pk_add_f16 v66, v90, v66
	v_pk_fma_f16 v90, v45, s24, v84 op_sel_hi:[0,1,1]
	v_pk_mul_f16 v86, v48, s21 op_sel_hi:[0,1]
	s_mov_b32 s26, 0xb5c83bf7
	s_mov_b32 s21, 0xbbdd39e9
	v_pk_add_f16 v66, v90, v66
	;; [unrolled: 5-line block ×4, first 2 shown]
	v_pk_fma_f16 v90, v51, s22, v87 op_sel_hi:[0,1,1]
	v_pk_mul_f16 v89, v54, s23 op_sel_hi:[0,1]
	s_mov_b32 s23, 0xbbb23b29
	v_pk_add_f16 v66, v90, v66
	v_pk_fma_f16 v90, v53, s21, v88 op_sel_hi:[0,1,1]
	v_mul_f16_e32 v67, 0xbbdd, v7
	v_pk_add_f16 v66, v90, v66
	v_pk_fma_f16 v90, v55, s23, v89 op_sel_hi:[0,1,1]
	v_mul_f16_e32 v68, 0x3b76, v42
	s_movk_i32 s18, 0x35c8
	v_pk_add_f16 v66, v90, v66
	v_fma_f16 v90, v8, s16, v67
	v_mul_f16_e32 v69, 0xbacd, v43
	v_add_f16_e32 v90, v34, v90
	v_fma_f16 v91, v44, s18, v68
	v_mul_f16_e32 v70, 0x39e9, v46
	s_movk_i32 s17, 0x3964
	v_add_f16_e32 v90, v91, v90
	v_fma_f16 v91, v45, s9, v69
	v_mul_f16_e32 v71, 0xb8d2, v48
	v_add_f16_e32 v90, v91, v90
	v_fma_f16 v91, v47, s17, v70
	v_mul_f16_e32 v72, 0x3722, v50
	s_movk_i32 s19, 0x3b29
	v_add_f16_e32 v90, v91, v90
	v_fma_f16 v91, v49, s14, v71
	v_mul_f16_e32 v73, 0xb461, v52
	v_add_f16_e32 v90, v91, v90
	v_fma_f16 v91, v51, s19, v72
	v_add_f16_e32 v90, v91, v90
	v_fma_f16 v91, v53, s8, v73
	v_add_f16_e32 v90, v91, v90
	v_mul_f16_e32 v91, 0x2de8, v54
	s_movk_i32 s14, 0x3bf7
	v_fma_f16 v75, v8, s17, v75
	v_fma_f16 v92, v55, s14, v91
	v_add_f16_e32 v75, v34, v75
	v_fma_f16 v76, v44, s14, v76
	s_movk_i32 s14, 0x3a62
	v_add_f16_e32 v75, v76, v75
	v_mul_f16_e32 v76, 0x3b76, v7
	v_fma_f16 v77, v45, s14, v77
	s_movk_i32 s14, 0x31e1
	v_add_f16_e32 v75, v77, v75
	v_mul_f16_e32 v77, 0x39e9, v42
	v_fma_f16 v78, v47, s14, v78
	v_add_f16_e32 v56, v56, v76
	v_add_f16_e32 v75, v78, v75
	v_mul_f16_e32 v78, 0x3722, v43
	v_fma_f16 v79, v49, s9, v79
	v_add_f16_e32 v57, v57, v77
	v_add_f16_e32 v56, v34, v56
	v_add_f16_e32 v75, v79, v75
	v_mul_f16_e32 v79, 0x2de8, v46
	v_fma_f16 v80, v51, s8, v80
	v_add_f16_e32 v56, v57, v56
	;; [unrolled: 5-line block ×4, first 2 shown]
	v_add_f16_e32 v60, v60, v80
	v_add_f16_e32 v75, v82, v75
	v_mul_f16_e32 v82, 0xbacd, v52
	v_add_f16_e32 v56, v60, v56
	v_add_f16_e32 v61, v61, v81
	v_mul_f16_e32 v76, 0xbbdd, v54
	v_add_f16_e32 v56, v61, v56
	v_add_f16_e32 v62, v62, v82
	;; [unrolled: 1-line block ×22, first 2 shown]
	v_mul_f16_e32 v77, 0xb1e1, v8
	v_pk_mul_f16 v81, v8, s15 op_sel_hi:[0,1]
	v_pack_b32_f16 v63, v63, v56
	v_mad_u32_u24 v92, v3, 34, 0
	s_mov_b32 s6, 0xffff
	v_mul_f16_e32 v57, 0x35c8, v44
	v_pk_mul_f16 v61, v44, s20 op_sel_hi:[0,1]
	ds_write_b128 v92, v[63:66]
	v_bfi_b32 v65, s6, v67, v74
	v_bfi_b32 v66, s6, v77, v81
	v_pk_add_f16 v65, v65, v66 neg_lo:[0,1] neg_hi:[0,1]
	v_bfi_b32 v66, s6, v68, v83
	v_bfi_b32 v57, s6, v57, v61
	v_mul_f16_e32 v78, 0xb836, v45
	v_pk_mul_f16 v82, v45, s24 op_sel_hi:[0,1]
	v_pk_add_f16 v65, v34, v65 op_sel_hi:[0,1]
	v_pk_add_f16 v57, v66, v57 neg_lo:[0,1] neg_hi:[0,1]
	v_pk_add_f16 v57, v57, v65
	v_bfi_b32 v61, s6, v69, v84
	v_bfi_b32 v65, s6, v78, v82
	v_mul_f16_e32 v58, 0x3964, v47
	v_pk_mul_f16 v62, v47, s25 op_sel_hi:[0,1]
	v_pk_add_f16 v61, v61, v65 neg_lo:[0,1] neg_hi:[0,1]
	v_pk_add_f16 v57, v61, v57
	v_bfi_b32 v61, s6, v70, v85
	v_bfi_b32 v58, s6, v58, v62
	v_mul_f16_e32 v79, 0xba62, v49
	v_pk_mul_f16 v76, v49, s26 op_sel_hi:[0,1]
	;; [unrolled: 6-line block ×5, first 2 shown]
	v_pk_add_f16 v57, v57, v58 neg_lo:[0,1] neg_hi:[0,1]
	v_pk_add_f16 v56, v57, v56
	v_bfi_b32 v57, s6, v91, v89
	v_bfi_b32 v58, s6, v60, v64
	v_pk_add_f16 v57, v57, v58 neg_lo:[0,1] neg_hi:[0,1]
	s_mov_b32 s7, 0x3bb23a62
	v_pk_add_f16 v56, v57, v56
	s_mov_b32 s6, 0xb461b8d2
	v_pk_mul_f16 v57, v8, s7 op_sel_hi:[0,1]
	s_mov_b32 s7, 0xb836bbb2
	v_pk_fma_f16 v57, v7, s6, v57 op_sel_hi:[0,1,1]
	s_mov_b32 s6, 0xbacdb461
	v_pk_mul_f16 v58, v44, s7 op_sel_hi:[0,1]
	v_pk_add_f16 v57, v34, v57 op_sel_hi:[0,1]
	v_pk_fma_f16 v58, v42, s6, v58 op_sel_hi:[0,1,1]
	s_mov_b32 s7, 0xb96435c8
	v_pk_add_f16 v57, v58, v57
	s_mov_b32 s6, 0x39e93b76
	v_pk_mul_f16 v58, v45, s7 op_sel_hi:[0,1]
	v_pk_fma_f16 v58, v43, s6, v58 op_sel_hi:[0,1,1]
	s_mov_b32 s7, 0x3b293836
	v_pk_add_f16 v57, v58, v57
	s_mov_b32 s6, 0x3722bacd
	v_pk_mul_f16 v58, v47, s7 op_sel_hi:[0,1]
	;; [unrolled: 5-line block ×6, first 2 shown]
	s_mov_b32 s7, 0x3b293bf7
	v_pk_fma_f16 v58, v54, s6, v58 op_sel_hi:[0,1,1]
	s_mov_b32 s6, 0x37222de8
	v_pk_mul_f16 v8, v8, s7 op_sel_hi:[0,1]
	s_mov_b32 s7, 0x3a6231e1
	v_pk_fma_f16 v7, v7, s6, v8 op_sel_hi:[0,1,1]
	s_mov_b32 s6, 0xb8d2bbdd
	v_pk_mul_f16 v8, v44, s7 op_sel_hi:[0,1]
	v_pk_add_f16 v7, v34, v7 op_sel_hi:[0,1]
	v_pk_fma_f16 v8, v42, s6, v8 op_sel_hi:[0,1,1]
	s_mov_b32 s7, 0xb1e1bbb2
	v_pk_add_f16 v7, v8, v7
	s_mov_b32 s6, 0xbbddb461
	v_pk_mul_f16 v8, v45, s7 op_sel_hi:[0,1]
	v_pk_fma_f16 v8, v43, s6, v8 op_sel_hi:[0,1,1]
	s_mov_b32 s7, 0xbbb2b5c8
	v_pk_add_f16 v7, v8, v7
	s_mov_b32 s6, 0xb4613b76
	v_pk_mul_f16 v8, v47, s7 op_sel_hi:[0,1]
	;; [unrolled: 5-line block ×6, first 2 shown]
	v_pk_fma_f16 v8, v54, s6, v8 op_sel_hi:[0,1,1]
	v_pk_add_f16 v57, v58, v57
	v_pk_add_f16 v7, v8, v7
	v_alignbit_b32 v43, v57, v56, 16
	v_pack_b32_f16 v42, v90, v56
	v_alignbit_b32 v45, v75, v7, 16
	v_alignbit_b32 v44, v7, v57, 16
	ds_write_b128 v92, v[42:45] offset:16
	ds_write_b16 v92, v4 offset:32
.LBB0_13:
	s_or_b64 exec, exec, s[2:3]
	v_sub_f16_e32 v64, v0, v41
	s_mov_b32 s2, 0xb964b5c8
	v_add_f16_e32 v63, v11, v26
	v_sub_f16_e32 v62, v9, v40
	s_mov_b32 s17, 0x39e93b76
	v_pk_mul_f16 v7, v64, s2 op_sel_hi:[0,1]
	s_mov_b32 s2, 0xbbf7b964
	v_add_f16_e32 v61, v12, v25
	v_sub_f16_e32 v60, v27, v39
	s_mov_b32 s6, 0x2de839e9
	v_pk_mul_f16 v8, v62, s2 op_sel_hi:[0,1]
	s_mov_b32 s2, 0xba62bb29
	v_pk_fma_f16 v0, v63, s17, v7 op_sel_hi:[0,1,1]
	v_add_f16_e32 v59, v13, v24
	v_sub_f16_e32 v58, v28, v38
	s_mov_b32 s7, 0xb8d23722
	v_pk_mul_f16 v43, v60, s2 op_sel_hi:[0,1]
	s_mov_b32 s2, 0xb1e1bbf7
	v_pk_add_f16 v0, v10, v0 op_sel_hi:[0,1]
	v_pk_fma_f16 v9, v61, s6, v8 op_sel_hi:[0,1,1]
	v_add_f16_e32 v57, v14, v23
	v_sub_f16_e32 v56, v29, v37
	s_mov_b32 s8, 0xbbdd2de8
	v_pk_mul_f16 v44, v58, s2 op_sel_hi:[0,1]
	s_mov_b32 s2, 0x3836bbb2
	v_pk_add_f16 v0, v9, v0
	v_pk_fma_f16 v9, v59, s7, v43 op_sel_hi:[0,1,1]
	v_add_f16_e32 v55, v15, v22
	v_sub_f16_e32 v54, v30, v36
	s_mov_b32 s9, 0xbacdb461
	v_pk_mul_f16 v45, v56, s2 op_sel_hi:[0,1]
	s_mov_b32 s2, 0x3bb2ba62
	v_pk_add_f16 v0, v9, v0
	;; [unrolled: 7-line block ×3, first 2 shown]
	v_pk_fma_f16 v9, v55, s9, v45 op_sel_hi:[0,1,1]
	v_add_f16_e32 v51, v17, v20
	s_mov_b32 s15, 0x3722bacd
	v_pk_mul_f16 v47, v52, s2 op_sel_hi:[0,1]
	v_pk_add_f16 v0, v9, v0
	v_pk_fma_f16 v9, v53, s14, v46 op_sel_hi:[0,1,1]
	v_pk_add_f16 v0, v9, v0
	v_pk_fma_f16 v9, v51, s15, v47 op_sel_hi:[0,1,1]
	v_pk_add_f16 v9, v9, v0
	v_lshl_add_u32 v0, v3, 1, 0
	v_sub_f16_e32 v50, v32, v33
	s_waitcnt lgkmcnt(0)
	s_barrier
	ds_read_u16 v34, v0
	ds_read_u16 v33, v0 offset:238
	ds_read_u16 v32, v0 offset:476
	;; [unrolled: 1-line block ×15, first 2 shown]
	s_mov_b32 s2, 0x35c8b1e1
	v_add_f16_e32 v49, v18, v19
	s_mov_b32 s16, 0x3b76bbdd
	v_pk_mul_f16 v48, v50, s2 op_sel_hi:[0,1]
	v_pk_fma_f16 v65, v49, s16, v48 op_sel_hi:[0,1,1]
	v_pk_add_f16 v9, v65, v9
	s_waitcnt lgkmcnt(0)
	s_barrier
	s_and_saveexec_b64 s[2:3], s[0:1]
	s_cbranch_execz .LBB0_15
; %bb.14:
	s_mov_b32 s0, 0x5040100
	v_perm_b32 v66, v10, v10, s0
	v_add_f16_e32 v10, v10, v11
	v_add_f16_e32 v10, v10, v12
	v_add_f16_e32 v10, v10, v13
	v_add_f16_e32 v10, v10, v14
	v_add_f16_e32 v10, v10, v15
	v_add_f16_e32 v10, v10, v16
	v_pack_b32_f16 v65, v63, v63
	v_pk_mul_f16 v63, v63, s17 op_sel_hi:[0,1]
	v_add_f16_e32 v10, v10, v17
	v_pack_b32_f16 v67, v61, v61
	v_pk_mul_f16 v61, v61, s6 op_sel_hi:[0,1]
	v_add_f16_e32 v10, v10, v18
	v_pk_add_f16 v7, v63, v7 neg_lo:[0,1] neg_hi:[0,1]
	v_pack_b32_f16 v68, v59, v59
	v_pk_mul_f16 v59, v59, s7 op_sel_hi:[0,1]
	v_add_f16_e32 v10, v10, v19
	v_pk_add_f16 v7, v66, v7
	v_pk_add_f16 v8, v61, v8 neg_lo:[0,1] neg_hi:[0,1]
	v_pack_b32_f16 v69, v57, v57
	v_pk_mul_f16 v57, v57, s8 op_sel_hi:[0,1]
	v_add_f16_e32 v10, v10, v20
	v_pk_add_f16 v7, v8, v7
	;; [unrolled: 5-line block ×6, first 2 shown]
	v_pk_add_f16 v8, v51, v47 neg_lo:[0,1] neg_hi:[0,1]
	v_pack_b32_f16 v64, v64, v64
	v_add_f16_e32 v10, v10, v25
	v_pk_add_f16 v7, v8, v7
	v_pk_add_f16 v8, v49, v48 neg_lo:[0,1] neg_hi:[0,1]
	s_mov_b32 s1, 0xbbf7bb29
	v_pack_b32_f16 v62, v62, v62
	v_add_f16_e32 v14, v10, v26
	v_pk_add_f16 v10, v8, v7
	s_mov_b32 s0, 0x2de83722
	v_pk_mul_f16 v7, v64, s1
	s_mov_b32 s6, 0xb1e1ba62
	v_pack_b32_f16 v60, v60, v60
	v_pk_fma_f16 v8, v65, s0, v7 neg_lo:[0,0,1] neg_hi:[0,0,1]
	s_mov_b32 s1, 0xbbddb8d2
	v_pk_mul_f16 v12, v62, s6
	s_mov_b32 s7, 0x3bb231e1
	v_pack_b32_f16 v58, v58, v58
	v_pk_add_f16 v8, v66, v8
	v_pk_fma_f16 v11, v67, s1, v12 neg_lo:[0,0,1] neg_hi:[0,0,1]
	s_mov_b32 s6, 0xb461bbdd
	v_pk_mul_f16 v13, v60, s7
	s_mov_b32 s8, 0x35c83bb2
	v_pack_b32_f16 v56, v56, v56
	v_pk_add_f16 v8, v11, v8
	;; [unrolled: 6-line block ×5, first 2 shown]
	v_pk_fma_f16 v11, v71, s9, v17 neg_lo:[0,0,1] neg_hi:[0,0,1]
	s_mov_b32 s14, 0xb8d22de8
	v_pk_mul_f16 v18, v52, s15
	s_mov_b32 s16, 0x3964b836
	v_pk_add_f16 v8, v11, v8
	v_pk_fma_f16 v11, v72, s14, v18 neg_lo:[0,0,1] neg_hi:[0,0,1]
	s_mov_b32 s15, 0x39e9bacd
	v_pk_mul_f16 v19, v50, s16
	v_pk_add_f16 v8, v11, v8
	v_pk_fma_f16 v11, v73, s15, v19 neg_lo:[0,0,1] neg_hi:[0,0,1]
	v_pk_fma_f16 v7, v65, s0, v7
	v_pk_add_f16 v11, v11, v8
	v_pk_add_f16 v7, v66, v7
	v_pk_fma_f16 v8, v67, s1, v12
	v_pk_add_f16 v7, v8, v7
	v_pk_fma_f16 v8, v68, s6, v13
	;; [unrolled: 2-line block ×7, first 2 shown]
	s_mov_b32 s1, 0xba62bbb2
	v_pk_add_f16 v7, v8, v7
	s_mov_b32 s0, 0xb8d2b461
	v_pk_mul_f16 v8, v64, s1
	s_mov_b32 s6, 0x3bb23836
	v_pk_fma_f16 v12, v65, s0, v8 neg_lo:[0,0,1] neg_hi:[0,0,1]
	s_mov_b32 s1, 0xb461bacd
	v_pk_mul_f16 v13, v62, s6
	v_pk_add_f16 v12, v66, v12
	v_pk_fma_f16 v15, v67, s1, v13 neg_lo:[0,0,1] neg_hi:[0,0,1]
	s_mov_b32 s7, 0xb5c83964
	v_pk_add_f16 v12, v15, v12
	s_mov_b32 s6, 0x3b7639e9
	v_pk_mul_f16 v15, v60, s7
	v_pk_fma_f16 v16, v68, s6, v15 neg_lo:[0,0,1] neg_hi:[0,0,1]
	s_mov_b32 s8, 0xb836bb29
	v_pk_add_f16 v12, v16, v12
	s_mov_b32 s7, 0xbacd3722
	v_pk_mul_f16 v16, v58, s8
	;; [unrolled: 5-line block ×3, first 2 shown]
	v_pk_fma_f16 v8, v65, s0, v8
	v_pk_fma_f16 v18, v70, s8, v17 neg_lo:[0,0,1] neg_hi:[0,0,1]
	s_mov_b32 s14, 0xb9643bf7
	v_pk_add_f16 v8, v66, v8
	v_pk_fma_f16 v13, v67, s1, v13
	v_pk_add_f16 v12, v18, v12
	s_mov_b32 s9, 0x39e92de8
	v_pk_mul_f16 v18, v54, s14
	v_pk_add_f16 v8, v13, v8
	v_pk_fma_f16 v13, v68, s6, v15
	v_pk_fma_f16 v19, v71, s9, v18 neg_lo:[0,0,1] neg_hi:[0,0,1]
	s_mov_b32 s15, 0xb1e1b5c8
	v_pk_add_f16 v8, v13, v8
	v_pk_fma_f16 v13, v69, s7, v16
	v_pk_add_f16 v12, v19, v12
	s_mov_b32 s14, 0xbbdd3b76
	v_pk_mul_f16 v19, v52, s15
	v_pk_add_f16 v8, v13, v8
	;; [unrolled: 9-line block ×3, first 2 shown]
	v_pk_fma_f16 v13, v72, s14, v19
	s_mov_b32 s1, 0xb1e1b836
	v_pk_add_f16 v8, v13, v8
	v_pk_fma_f16 v13, v73, s15, v20
	s_mov_b32 s0, 0xbbddbacd
	v_pk_mul_f16 v15, v64, s1
	s_mov_b32 s6, 0x35c83b29
	v_pk_add_f16 v8, v13, v8
	v_pk_fma_f16 v13, v65, s0, v15 neg_lo:[0,0,1] neg_hi:[0,0,1]
	s_mov_b32 s1, 0x3b763722
	v_pk_mul_f16 v16, v62, s6
	v_pk_add_f16 v13, v66, v13
	v_pk_fma_f16 v17, v67, s1, v16 neg_lo:[0,0,1] neg_hi:[0,0,1]
	s_mov_b32 s7, 0xb836bbf7
	v_pk_add_f16 v13, v17, v13
	s_mov_b32 s6, 0xbacd2de8
	v_pk_mul_f16 v17, v60, s7
	v_pk_fma_f16 v18, v68, s6, v17 neg_lo:[0,0,1] neg_hi:[0,0,1]
	s_mov_b32 s8, 0x39643a62
	v_pk_add_f16 v13, v18, v13
	s_mov_b32 s7, 0x39e9b8d2
	v_pk_mul_f16 v18, v58, s8
	v_pk_fma_f16 v19, v69, s7, v18 neg_lo:[0,0,1] neg_hi:[0,0,1]
	s_mov_b32 s9, 0xba62b5c8
	v_pk_add_f16 v13, v19, v13
	s_mov_b32 s8, 0xb8d23b76
	v_pk_mul_f16 v19, v56, s9
	v_pk_fma_f16 v15, v65, s0, v15
	v_pk_fma_f16 v21, v73, s15, v20 neg_lo:[0,0,1] neg_hi:[0,0,1]
	v_pk_fma_f16 v20, v70, s8, v19 neg_lo:[0,0,1] neg_hi:[0,0,1]
	s_mov_b32 s14, 0x3b29b1e1
	v_pk_add_f16 v15, v66, v15
	v_pk_fma_f16 v16, v67, s1, v16
	v_pk_add_f16 v13, v20, v13
	s_mov_b32 s9, 0x3722bbdd
	v_pk_mul_f16 v20, v54, s14
	v_pk_add_f16 v15, v16, v15
	v_pk_fma_f16 v16, v68, s6, v17
	v_pk_add_f16 v12, v21, v12
	v_pk_fma_f16 v21, v71, s9, v20 neg_lo:[0,0,1] neg_hi:[0,0,1]
	s_mov_b32 s15, 0xbbb23964
	v_pk_add_f16 v15, v16, v15
	v_pk_fma_f16 v16, v69, s7, v18
	v_pk_add_f16 v13, v21, v13
	s_mov_b32 s14, 0xb46139e9
	v_pk_mul_f16 v21, v52, s15
	v_pk_add_f16 v15, v16, v15
	v_pk_fma_f16 v16, v70, s8, v19
	v_pk_fma_f16 v22, v72, s14, v21 neg_lo:[0,0,1] neg_hi:[0,0,1]
	s_mov_b32 s16, 0x3bf7bbb2
	v_pk_add_f16 v15, v16, v15
	v_pk_fma_f16 v16, v71, s9, v20
	v_pk_add_f16 v13, v22, v13
	s_mov_b32 s15, 0x2de8b461
	v_pk_mul_f16 v22, v50, s16
	v_pk_add_f16 v15, v16, v15
	v_pk_fma_f16 v16, v72, s14, v21
	v_pk_fma_f16 v23, v73, s15, v22 neg_lo:[0,0,1] neg_hi:[0,0,1]
	v_pk_add_f16 v15, v16, v15
	v_pk_fma_f16 v16, v73, s15, v22
	v_pk_add_f16 v13, v23, v13
	v_pk_add_f16 v15, v16, v15
	v_lshl_add_u32 v16, v3, 5, v0
	ds_write_b16 v16, v14
	ds_write_b128 v16, v[10:13] offset:2
	v_alignbit_b32 v10, v15, v15, 16
	v_alignbit_b32 v11, v8, v8, 16
	v_alignbit_b32 v12, v7, v7, 16
	v_alignbit_b32 v13, v9, v9, 16
	ds_write_b128 v16, v[10:13] offset:18
.LBB0_15:
	s_or_b64 exec, exec, s[2:3]
	s_movk_i32 s0, 0xf1
	v_mul_lo_u16_sdwa v18, v3, s0 dst_sel:DWORD dst_unused:UNUSED_PAD src0_sel:BYTE_0 src1_sel:DWORD
	v_lshrrev_b16_e32 v11, 12, v18
	v_mul_lo_u16_e32 v10, 17, v11
	v_sub_u16_e32 v13, v3, v10
	v_add_u16_e32 v10, 0x77, v3
	v_add_u32_e32 v8, 0xee, v3
	v_mul_lo_u16_sdwa v20, v10, s0 dst_sel:DWORD dst_unused:UNUSED_PAD src0_sel:BYTE_0 src1_sel:DWORD
	s_mov_b32 s0, 0xf0f1
	v_mul_u32_u24_sdwa v24, v8, s0 dst_sel:DWORD dst_unused:UNUSED_PAD src0_sel:WORD_0 src1_sel:DWORD
	v_add_u32_e32 v7, 0x165, v3
	v_lshrrev_b16_e32 v21, 12, v20
	v_lshrrev_b32_e32 v25, 20, v24
	v_mul_lo_u16_e32 v22, 17, v21
	v_mul_lo_u16_e32 v26, 17, v25
	v_mul_u32_u24_sdwa v44, v7, s0 dst_sel:DWORD dst_unused:UNUSED_PAD src0_sel:WORD_0 src1_sel:DWORD
	v_add_u32_e32 v12, 0x1dc, v3
	v_mov_b32_e32 v19, 2
	v_sub_u16_e32 v22, v10, v22
	v_sub_u16_e32 v26, v8, v26
	v_lshrrev_b32_e32 v45, 20, v44
	v_lshlrev_b32_sdwa v14, v19, v13 dst_sel:DWORD dst_unused:UNUSED_PAD src0_sel:DWORD src1_sel:BYTE_0
	v_lshlrev_b32_sdwa v23, v19, v22 dst_sel:DWORD dst_unused:UNUSED_PAD src0_sel:DWORD src1_sel:BYTE_0
	v_lshlrev_b32_e32 v43, 2, v26
	v_mul_lo_u16_e32 v46, 17, v45
	v_mul_u32_u24_sdwa v48, v12, s0 dst_sel:DWORD dst_unused:UNUSED_PAD src0_sel:WORD_0 src1_sel:DWORD
	s_load_dwordx2 s[4:5], s[4:5], 0x0
	v_add_u32_e32 v15, 0x253, v3
	s_waitcnt lgkmcnt(0)
	s_barrier
	v_sub_u16_e32 v46, v7, v46
	global_load_dword v14, v14, s[12:13]
	v_lshrrev_b32_e32 v49, 20, v48
	global_load_dword v23, v23, s[12:13]
	v_lshlrev_b32_e32 v47, 2, v46
	global_load_dword v43, v43, s[12:13]
	v_mul_lo_u16_e32 v50, 17, v49
	global_load_dword v47, v47, s[12:13]
	v_mul_u32_u24_sdwa v52, v15, s0 dst_sel:DWORD dst_unused:UNUSED_PAD src0_sel:WORD_0 src1_sel:DWORD
	v_add_u32_e32 v16, 0x2ca, v3
	v_sub_u16_e32 v50, v12, v50
	v_lshrrev_b32_e32 v53, 20, v52
	v_lshlrev_b32_e32 v51, 2, v50
	global_load_dword v51, v51, s[12:13]
	v_mul_lo_u16_e32 v54, 17, v53
	v_mul_u32_u24_sdwa v56, v16, s0 dst_sel:DWORD dst_unused:UNUSED_PAD src0_sel:WORD_0 src1_sel:DWORD
	v_add_u32_e32 v17, 0x341, v3
	v_sub_u16_e32 v54, v15, v54
	v_lshrrev_b32_e32 v57, 20, v56
	v_lshlrev_b32_e32 v55, 2, v54
	global_load_dword v55, v55, s[12:13]
	v_mul_lo_u16_e32 v58, 17, v57
	v_mul_u32_u24_sdwa v60, v17, s0 dst_sel:DWORD dst_unused:UNUSED_PAD src0_sel:WORD_0 src1_sel:DWORD
	v_sub_u16_e32 v58, v16, v58
	v_lshrrev_b32_e32 v61, 20, v60
	v_lshlrev_b32_e32 v59, 2, v58
	global_load_dword v59, v59, s[12:13]
	v_mul_lo_u16_e32 v62, 17, v61
	v_sub_u16_e32 v62, v17, v62
	v_lshlrev_b32_e32 v63, 2, v62
	global_load_dword v63, v63, s[12:13]
	ds_read_u16 v64, v0
	ds_read_u16 v65, v0 offset:238
	ds_read_u16 v66, v0 offset:476
	;; [unrolled: 1-line block ×15, first 2 shown]
	v_mul_u32_u24_e32 v11, 0x44, v11
	s_waitcnt vmcnt(0) lgkmcnt(0)
	s_barrier
	v_lshrrev_b16_e32 v18, 13, v18
	v_lshrrev_b16_e32 v20, 13, v20
	v_lshrrev_b32_e32 v24, 21, v24
	v_cmp_gt_u32_e64 s[0:1], 34, v3
	v_mul_f16_sdwa v80, v72, v14 dst_sel:DWORD dst_unused:UNUSED_PAD src0_sel:DWORD src1_sel:WORD_1
	v_mul_f16_sdwa v81, v42, v14 dst_sel:DWORD dst_unused:UNUSED_PAD src0_sel:DWORD src1_sel:WORD_1
	v_fma_f16 v42, v42, v14, v80
	v_fma_f16 v14, v72, v14, -v81
	v_mul_f16_sdwa v84, v74, v43 dst_sel:DWORD dst_unused:UNUSED_PAD src0_sel:DWORD src1_sel:WORD_1
	v_fma_f16 v72, v40, v43, v84
	v_mul_f16_sdwa v40, v40, v43 dst_sel:DWORD dst_unused:UNUSED_PAD src0_sel:DWORD src1_sel:WORD_1
	v_fma_f16 v40, v74, v43, -v40
	v_mul_f16_sdwa v43, v75, v47 dst_sel:DWORD dst_unused:UNUSED_PAD src0_sel:DWORD src1_sel:WORD_1
	v_fma_f16 v43, v39, v47, v43
	v_mul_f16_sdwa v39, v39, v47 dst_sel:DWORD dst_unused:UNUSED_PAD src0_sel:DWORD src1_sel:WORD_1
	;; [unrolled: 4-line block ×3, first 2 shown]
	v_mul_f16_sdwa v82, v73, v23 dst_sel:DWORD dst_unused:UNUSED_PAD src0_sel:DWORD src1_sel:WORD_1
	v_mul_f16_sdwa v83, v41, v23 dst_sel:DWORD dst_unused:UNUSED_PAD src0_sel:DWORD src1_sel:WORD_1
	v_fma_f16 v38, v76, v51, -v38
	v_fma_f16 v41, v41, v23, v82
	v_mul_f16_sdwa v51, v77, v55 dst_sel:DWORD dst_unused:UNUSED_PAD src0_sel:DWORD src1_sel:WORD_1
	v_fma_f16 v23, v73, v23, -v83
	v_fma_f16 v51, v37, v55, v51
	v_mul_f16_sdwa v37, v37, v55 dst_sel:DWORD dst_unused:UNUSED_PAD src0_sel:DWORD src1_sel:WORD_1
	v_mov_b32_e32 v73, 1
	v_fma_f16 v37, v77, v55, -v37
	v_mul_f16_sdwa v55, v78, v59 dst_sel:DWORD dst_unused:UNUSED_PAD src0_sel:DWORD src1_sel:WORD_1
	v_lshlrev_b32_sdwa v13, v73, v13 dst_sel:DWORD dst_unused:UNUSED_PAD src0_sel:DWORD src1_sel:BYTE_0
	v_fma_f16 v55, v36, v59, v55
	v_mul_f16_sdwa v36, v36, v59 dst_sel:DWORD dst_unused:UNUSED_PAD src0_sel:DWORD src1_sel:WORD_1
	v_add3_u32 v74, 0, v11, v13
	v_mul_u32_u24_e32 v11, 0x44, v21
	v_lshlrev_b32_sdwa v13, v73, v22 dst_sel:DWORD dst_unused:UNUSED_PAD src0_sel:DWORD src1_sel:BYTE_0
	v_fma_f16 v36, v78, v59, -v36
	v_mul_f16_sdwa v59, v79, v63 dst_sel:DWORD dst_unused:UNUSED_PAD src0_sel:DWORD src1_sel:WORD_1
	v_add3_u32 v21, 0, v11, v13
	v_mul_u32_u24_e32 v11, 0x44, v25
	v_lshlrev_b32_e32 v13, 1, v26
	v_fma_f16 v59, v35, v63, v59
	v_mul_f16_sdwa v35, v35, v63 dst_sel:DWORD dst_unused:UNUSED_PAD src0_sel:DWORD src1_sel:WORD_1
	v_sub_f16_e32 v42, v34, v42
	v_sub_f16_e32 v23, v65, v23
	v_add3_u32 v22, 0, v11, v13
	v_mul_u32_u24_e32 v11, 0x44, v45
	v_lshlrev_b32_e32 v13, 1, v46
	v_fma_f16 v35, v79, v63, -v35
	v_sub_f16_e32 v63, v64, v14
	v_fma_f16 v14, v34, 2.0, -v42
	v_sub_f16_e32 v34, v33, v41
	v_fma_f16 v41, v65, 2.0, -v23
	v_sub_f16_e32 v65, v32, v72
	v_sub_f16_e32 v43, v31, v43
	;; [unrolled: 1-line block ×3, first 2 shown]
	v_add3_u32 v25, 0, v11, v13
	v_mul_u32_u24_e32 v11, 0x44, v49
	v_lshlrev_b32_e32 v13, 1, v50
	v_fma_f16 v33, v33, 2.0, -v34
	v_fma_f16 v32, v32, 2.0, -v65
	;; [unrolled: 1-line block ×3, first 2 shown]
	v_sub_f16_e32 v72, v68, v38
	v_fma_f16 v30, v30, 2.0, -v47
	v_sub_f16_e32 v38, v29, v51
	v_add3_u32 v26, 0, v11, v13
	v_mul_u32_u24_e32 v11, 0x44, v53
	v_lshlrev_b32_e32 v13, 1, v54
	v_sub_f16_e32 v51, v69, v37
	v_fma_f16 v29, v29, 2.0, -v38
	v_sub_f16_e32 v37, v28, v55
	ds_write_b16 v74, v14
	ds_write_b16 v74, v42 offset:34
	ds_write_b16 v21, v33
	ds_write_b16 v21, v34 offset:34
	;; [unrolled: 2-line block ×5, first 2 shown]
	v_add3_u32 v30, 0, v11, v13
	v_mul_u32_u24_e32 v11, 0x44, v57
	v_lshlrev_b32_e32 v13, 1, v58
	v_sub_f16_e32 v39, v67, v39
	v_sub_f16_e32 v55, v70, v36
	v_fma_f16 v28, v28, 2.0, -v37
	v_sub_f16_e32 v36, v27, v59
	ds_write_b16 v30, v29
	ds_write_b16 v30, v38 offset:34
	v_add3_u32 v29, 0, v11, v13
	v_mul_u32_u24_e32 v11, 0x44, v61
	v_lshlrev_b32_e32 v13, 1, v62
	v_fma_f16 v64, v64, 2.0, -v63
	v_sub_f16_e32 v40, v66, v40
	v_fma_f16 v67, v67, 2.0, -v39
	v_sub_f16_e32 v59, v71, v35
	v_fma_f16 v27, v27, 2.0, -v36
	ds_write_b16 v29, v28
	ds_write_b16 v29, v37 offset:34
	v_add3_u32 v28, 0, v11, v13
	v_fma_f16 v66, v66, 2.0, -v40
	v_fma_f16 v68, v68, 2.0, -v72
	;; [unrolled: 1-line block ×5, first 2 shown]
	ds_write_b16 v28, v27
	ds_write_b16 v28, v36 offset:34
	s_waitcnt lgkmcnt(0)
	s_barrier
	ds_read_u16 v27, v0
	ds_read_u16 v31, v0 offset:238
	ds_read_u16 v32, v0 offset:476
	;; [unrolled: 1-line block ×15, first 2 shown]
	s_waitcnt lgkmcnt(0)
	s_barrier
	ds_write_b16 v74, v64
	ds_write_b16 v74, v63 offset:34
	ds_write_b16 v21, v41
	ds_write_b16 v21, v23 offset:34
	ds_write_b16 v22, v66
	ds_write_b16 v22, v40 offset:34
	ds_write_b16 v25, v67
	ds_write_b16 v25, v39 offset:34
	ds_write_b16 v26, v68
	ds_write_b16 v26, v72 offset:34
	ds_write_b16 v30, v69
	ds_write_b16 v30, v51 offset:34
	ds_write_b16 v29, v70
	ds_write_b16 v29, v55 offset:34
	ds_write_b16 v28, v71
	ds_write_b16 v28, v59 offset:34
	v_lshrrev_b32_e32 v67, 21, v48
	v_mul_lo_u16_e32 v39, 34, v67
	v_lshrrev_b32_e32 v69, 21, v52
	v_mul_lo_u16_e32 v21, 34, v18
	v_mul_lo_u16_e32 v23, 34, v20
	v_sub_u16_e32 v68, v12, v39
	v_mul_lo_u16_e32 v39, 34, v69
	v_sub_u16_e32 v21, v3, v21
	v_sub_u16_e32 v23, v10, v23
	;; [unrolled: 1-line block ×3, first 2 shown]
	v_lshlrev_b32_sdwa v22, v19, v21 dst_sel:DWORD dst_unused:UNUSED_PAD src0_sel:DWORD src1_sel:BYTE_0
	v_lshlrev_b32_sdwa v19, v19, v23 dst_sel:DWORD dst_unused:UNUSED_PAD src0_sel:DWORD src1_sel:BYTE_0
	v_lshrrev_b32_e32 v28, 21, v44
	v_lshlrev_b32_e32 v12, 2, v68
	v_lshlrev_b32_e32 v39, 2, v15
	v_lshrrev_b32_e32 v70, 21, v56
	s_waitcnt lgkmcnt(0)
	s_barrier
	v_mul_lo_u16_e32 v29, 34, v28
	global_load_dword v45, v22, s[12:13] offset:68
	global_load_dword v52, v39, s[12:13] offset:68
	;; [unrolled: 1-line block ×3, first 2 shown]
	v_mul_lo_u16_e32 v22, 34, v70
	global_load_dword v51, v12, s[12:13] offset:68
	v_sub_u16_e32 v29, v7, v29
	v_sub_u16_e32 v19, v16, v22
	v_lshlrev_b32_e32 v30, 2, v29
	v_lshlrev_b32_e32 v16, 2, v19
	global_load_dword v53, v16, s[12:13] offset:68
	v_lshrrev_b32_e32 v22, 21, v60
	v_mul_lo_u16_e32 v25, 34, v24
	global_load_dword v48, v30, s[12:13] offset:68
	v_mul_lo_u16_e32 v12, 34, v22
	v_sub_u16_e32 v25, v8, v25
	v_sub_u16_e32 v17, v17, v12
	v_lshlrev_b32_e32 v26, 2, v25
	v_lshlrev_b32_e32 v12, 2, v17
	global_load_dword v47, v26, s[12:13] offset:68
	global_load_dword v54, v12, s[12:13] offset:68
	ds_read_u16 v50, v0
	ds_read_u16 v49, v0 offset:238
	ds_read_u16 v44, v0 offset:476
	;; [unrolled: 1-line block ×15, first 2 shown]
	v_mul_u32_u24_e32 v18, 0x88, v18
	v_lshlrev_b32_sdwa v21, v73, v21 dst_sel:DWORD dst_unused:UNUSED_PAD src0_sel:DWORD src1_sel:BYTE_0
	v_lshlrev_b32_e32 v15, 1, v15
	v_lshlrev_b32_e32 v17, 1, v17
	s_waitcnt vmcnt(0) lgkmcnt(0)
	s_barrier
	v_mul_f16_sdwa v12, v62, v45 dst_sel:DWORD dst_unused:UNUSED_PAD src0_sel:DWORD src1_sel:WORD_1
	v_mul_f16_sdwa v64, v57, v52 dst_sel:DWORD dst_unused:UNUSED_PAD src0_sel:DWORD src1_sel:WORD_1
	v_fma_f16 v64, v14, v52, v64
	v_sub_f16_e32 v80, v75, v64
	v_mul_f16_sdwa v63, v58, v51 dst_sel:DWORD dst_unused:UNUSED_PAD src0_sel:DWORD src1_sel:WORD_1
	v_fma_f16 v63, v34, v51, v63
	v_sub_f16_e32 v78, v65, v63
	v_add3_u32 v63, 0, v18, v21
	v_mul_u32_u24_e32 v18, 0x88, v20
	v_lshlrev_b32_sdwa v20, v73, v23 dst_sel:DWORD dst_unused:UNUSED_PAD src0_sel:DWORD src1_sel:BYTE_0
	v_mul_f16_sdwa v66, v56, v53 dst_sel:DWORD dst_unused:UNUSED_PAD src0_sel:DWORD src1_sel:WORD_1
	v_add3_u32 v64, 0, v18, v20
	v_mul_u32_u24_e32 v18, 0x88, v24
	v_lshlrev_b32_e32 v20, 1, v25
	v_fma_f16 v66, v13, v53, v66
	v_fma_f16 v79, v65, 2.0, -v78
	v_add3_u32 v65, 0, v18, v20
	v_mul_u32_u24_e32 v18, 0x88, v28
	v_lshlrev_b32_e32 v20, 1, v29
	v_sub_f16_e32 v81, v76, v66
	v_add3_u32 v66, 0, v18, v20
	v_mul_u32_u24_e32 v18, 0x88, v67
	v_lshlrev_b32_e32 v20, 1, v68
	v_mul_f16_sdwa v16, v61, v46 dst_sel:DWORD dst_unused:UNUSED_PAD src0_sel:DWORD src1_sel:WORD_1
	v_mul_f16_sdwa v26, v60, v47 dst_sel:DWORD dst_unused:UNUSED_PAD src0_sel:DWORD src1_sel:WORD_1
	;; [unrolled: 1-line block ×4, first 2 shown]
	v_add3_u32 v67, 0, v18, v20
	v_mul_u32_u24_e32 v18, 0x88, v69
	v_fma_f16 v12, v38, v45, v12
	v_fma_f16 v16, v37, v46, v16
	;; [unrolled: 1-line block ×5, first 2 shown]
	v_add3_u32 v68, 0, v18, v15
	v_mul_u32_u24_e32 v15, 0x88, v70
	v_lshlrev_b32_e32 v18, 1, v19
	v_sub_f16_e32 v72, v27, v12
	v_sub_f16_e32 v74, v31, v16
	;; [unrolled: 1-line block ×5, first 2 shown]
	v_add3_u32 v69, 0, v15, v18
	v_mul_u32_u24_e32 v15, 0x88, v22
	v_fma_f16 v27, v27, 2.0, -v72
	v_fma_f16 v31, v31, 2.0, -v74
	;; [unrolled: 1-line block ×7, first 2 shown]
	v_add3_u32 v70, 0, v15, v17
	ds_write_b16 v63, v27
	ds_write_b16 v63, v72 offset:68
	ds_write_b16 v64, v31
	ds_write_b16 v64, v74 offset:68
	;; [unrolled: 2-line block ×8, first 2 shown]
	s_waitcnt lgkmcnt(0)
	s_barrier
	ds_read_u16 v17, v0
	ds_read_u16 v27, v0 offset:2176
	ds_read_u16 v18, v0 offset:1870
	;; [unrolled: 1-line block ×13, first 2 shown]
                                        ; implicit-def: $vgpr25
                                        ; implicit-def: $vgpr26
                                        ; implicit-def: $vgpr28
                                        ; implicit-def: $vgpr24
	s_and_saveexec_b64 s[2:3], s[0:1]
	s_cbranch_execz .LBB0_17
; %bb.16:
	ds_read_u16 v12, v0 offset:476
	ds_read_u16 v16, v0 offset:1020
	;; [unrolled: 1-line block ×7, first 2 shown]
.LBB0_17:
	s_or_b64 exec, exec, s[2:3]
	v_mul_f16_sdwa v38, v38, v45 dst_sel:DWORD dst_unused:UNUSED_PAD src0_sel:DWORD src1_sel:WORD_1
	v_mul_f16_sdwa v36, v36, v47 dst_sel:DWORD dst_unused:UNUSED_PAD src0_sel:DWORD src1_sel:WORD_1
	v_mul_f16_sdwa v35, v35, v48 dst_sel:DWORD dst_unused:UNUSED_PAD src0_sel:DWORD src1_sel:WORD_1
	v_mul_f16_sdwa v14, v14, v52 dst_sel:DWORD dst_unused:UNUSED_PAD src0_sel:DWORD src1_sel:WORD_1
	v_mul_f16_sdwa v13, v13, v53 dst_sel:DWORD dst_unused:UNUSED_PAD src0_sel:DWORD src1_sel:WORD_1
	v_fma_f16 v38, v62, v45, -v38
	v_mul_f16_sdwa v37, v37, v46 dst_sel:DWORD dst_unused:UNUSED_PAD src0_sel:DWORD src1_sel:WORD_1
	v_fma_f16 v36, v60, v47, -v36
	v_fma_f16 v35, v59, v48, -v35
	v_mul_f16_sdwa v34, v34, v51 dst_sel:DWORD dst_unused:UNUSED_PAD src0_sel:DWORD src1_sel:WORD_1
	v_fma_f16 v14, v57, v52, -v14
	;; [unrolled: 3-line block ×3, first 2 shown]
	v_fma_f16 v34, v58, v51, -v34
	v_fma_f16 v11, v55, v54, -v11
	v_sub_f16_e32 v38, v50, v38
	v_sub_f16_e32 v47, v44, v36
	;; [unrolled: 1-line block ×5, first 2 shown]
	v_fma_f16 v45, v50, 2.0, -v38
	v_sub_f16_e32 v37, v49, v37
	v_fma_f16 v44, v44, 2.0, -v47
	v_fma_f16 v43, v43, 2.0, -v35
	v_sub_f16_e32 v34, v42, v34
	v_fma_f16 v41, v41, 2.0, -v14
	;; [unrolled: 3-line block ×3, first 2 shown]
	v_fma_f16 v42, v42, 2.0, -v34
	v_fma_f16 v11, v39, 2.0, -v36
	s_waitcnt lgkmcnt(0)
	s_barrier
	ds_write_b16 v63, v45
	ds_write_b16 v63, v38 offset:68
	ds_write_b16 v64, v46
	ds_write_b16 v64, v37 offset:68
	ds_write_b16 v65, v44
	ds_write_b16 v65, v47 offset:68
	ds_write_b16 v66, v43
	ds_write_b16 v66, v35 offset:68
	ds_write_b16 v67, v42
	ds_write_b16 v67, v34 offset:68
	ds_write_b16 v68, v41
	ds_write_b16 v68, v14 offset:68
	ds_write_b16 v69, v40
	ds_write_b16 v69, v13 offset:68
	ds_write_b16 v70, v11
	ds_write_b16 v70, v36 offset:68
	s_waitcnt lgkmcnt(0)
	s_barrier
	ds_read_u16 v14, v0
	ds_read_u16 v41, v0 offset:2176
	ds_read_u16 v34, v0 offset:1870
	ds_read_u16 v48, v0 offset:1632
	ds_read_u16 v35, v0 offset:1326
	ds_read_u16 v44, v0 offset:1088
	ds_read_u16 v38, v0 offset:782
	ds_read_u16 v43, v0 offset:544
	ds_read_u16 v13, v0 offset:238
	ds_read_u16 v45, v0 offset:3502
	ds_read_u16 v54, v0 offset:3264
	ds_read_u16 v40, v0 offset:2958
	ds_read_u16 v52, v0 offset:2720
	ds_read_u16 v39, v0 offset:2414
                                        ; implicit-def: $vgpr56
                                        ; implicit-def: $vgpr37
                                        ; implicit-def: $vgpr55
                                        ; implicit-def: $vgpr57
	s_and_saveexec_b64 s[2:3], s[0:1]
	s_cbranch_execz .LBB0_19
; %bb.18:
	ds_read_u16 v11, v0 offset:476
	ds_read_u16 v36, v0 offset:1020
	;; [unrolled: 1-line block ×7, first 2 shown]
.LBB0_19:
	s_or_b64 exec, exec, s[2:3]
	s_movk_i32 s2, 0x44
	v_add_u32_e32 v42, 0xffffffbc, v3
	v_cmp_gt_u32_e64 s[2:3], s2, v3
	v_cndmask_b32_e64 v76, v42, v3, s[2:3]
	v_mul_i32_i24_e32 v46, 6, v76
	v_mov_b32_e32 v47, 0
	v_lshlrev_b64 v[46:47], 2, v[46:47]
	v_mov_b32_e32 v42, s13
	v_add_co_u32_e64 v46, s[2:3], s12, v46
	v_addc_co_u32_e64 v47, s[2:3], v42, v47, s[2:3]
	s_movk_i32 s2, 0x79
	global_load_dwordx4 v[58:61], v[46:47], off offset:204
	global_load_dwordx2 v[70:71], v[46:47], off offset:220
	v_mul_lo_u16_sdwa v46, v10, s2 dst_sel:DWORD dst_unused:UNUSED_PAD src0_sel:BYTE_0 src1_sel:DWORD
	v_lshrrev_b16_e32 v77, 13, v46
	v_mul_lo_u16_e32 v46, 0x44, v77
	v_mov_b32_e32 v42, 6
	v_sub_u16_e32 v78, v10, v46
	s_mov_b32 s2, 0xf0f1
	v_mul_u32_u24_sdwa v10, v78, v42 dst_sel:DWORD dst_unused:UNUSED_PAD src0_sel:BYTE_0 src1_sel:DWORD
	v_mul_u32_u24_sdwa v42, v8, s2 dst_sel:DWORD dst_unused:UNUSED_PAD src0_sel:WORD_0 src1_sel:DWORD
	v_lshrrev_b32_e32 v42, 22, v42
	v_mul_lo_u16_e32 v42, 0x44, v42
	v_lshlrev_b32_e32 v10, 2, v10
	v_sub_u16_e32 v79, v8, v42
	global_load_dwordx4 v[62:65], v10, s[12:13] offset:204
	global_load_dwordx2 v[72:73], v10, s[12:13] offset:220
	v_mul_u32_u24_e32 v10, 6, v79
	v_lshlrev_b32_e32 v10, 2, v10
	global_load_dwordx4 v[66:69], v10, s[12:13] offset:204
	global_load_dwordx2 v[74:75], v10, s[12:13] offset:220
	s_movk_i32 s7, 0x2b26
	s_mov_b32 s6, 0xbb00
	s_mov_b32 s8, 0xbcab
	s_movk_i32 s9, 0x39e0
	s_mov_b32 s14, 0xb9e0
	s_mov_b32 s15, 0xb574
	s_movk_i32 s17, 0x3574
	s_mov_b32 s16, 0xb70e
	s_movk_i32 s2, 0x43
	v_cmp_lt_u32_e64 s[2:3], s2, v3
	s_waitcnt vmcnt(0) lgkmcnt(0)
	s_barrier
	v_mul_f16_sdwa v46, v33, v58 dst_sel:DWORD dst_unused:UNUSED_PAD src0_sel:DWORD src1_sel:WORD_1
	v_mul_f16_sdwa v47, v44, v59 dst_sel:DWORD dst_unused:UNUSED_PAD src0_sel:DWORD src1_sel:WORD_1
	;; [unrolled: 1-line block ×9, first 2 shown]
	v_fma_f16 v46, v43, v58, -v46
	v_fma_f16 v43, v31, v59, v47
	v_fma_f16 v47, v44, v59, -v49
	v_fma_f16 v44, v29, v60, v50
	v_fma_f16 v49, v27, v61, v53
	v_fma_f16 v50, v41, v61, -v80
	v_fma_f16 v53, v30, v71, v83
	v_fma_f16 v54, v54, v71, -v84
	v_mul_f16_sdwa v31, v20, v63 dst_sel:DWORD dst_unused:UNUSED_PAD src0_sel:DWORD src1_sel:WORD_1
	v_mul_f16_sdwa v41, v34, v64 dst_sel:DWORD dst_unused:UNUSED_PAD src0_sel:DWORD src1_sel:WORD_1
	;; [unrolled: 1-line block ×5, first 2 shown]
	v_fma_f16 v42, v33, v58, v10
	v_mul_f16_sdwa v29, v35, v63 dst_sel:DWORD dst_unused:UNUSED_PAD src0_sel:DWORD src1_sel:WORD_1
	v_mul_f16_sdwa v80, v19, v73 dst_sel:DWORD dst_unused:UNUSED_PAD src0_sel:DWORD src1_sel:WORD_1
	;; [unrolled: 1-line block ×3, first 2 shown]
	v_fma_f16 v33, v35, v63, -v31
	v_fma_f16 v31, v18, v64, v41
	v_fma_f16 v41, v19, v73, v71
	;; [unrolled: 1-line block ×3, first 2 shown]
	v_mul_f16_sdwa v4, v57, v68 dst_sel:DWORD dst_unused:UNUSED_PAD src0_sel:DWORD src1_sel:WORD_1
	v_mul_f16_sdwa v59, v39, v65 dst_sel:DWORD dst_unused:UNUSED_PAD src0_sel:DWORD src1_sel:WORD_1
	v_fma_f16 v30, v20, v63, v29
	v_fma_f16 v20, v24, v68, v4
	v_mul_f16_sdwa v4, v24, v68 dst_sel:DWORD dst_unused:UNUSED_PAD src0_sel:DWORD src1_sel:WORD_1
	v_fma_f16 v48, v48, v60, -v51
	v_mul_f16_sdwa v60, v23, v65 dst_sel:DWORD dst_unused:UNUSED_PAD src0_sel:DWORD src1_sel:WORD_1
	v_fma_f16 v35, v23, v65, v59
	v_fma_f16 v23, v57, v68, -v4
	v_mul_f16_sdwa v4, v56, v69 dst_sel:DWORD dst_unused:UNUSED_PAD src0_sel:DWORD src1_sel:WORD_1
	v_fma_f16 v24, v25, v69, v4
	v_mul_f16_sdwa v4, v25, v69 dst_sel:DWORD dst_unused:UNUSED_PAD src0_sel:DWORD src1_sel:WORD_1
	v_mul_f16_sdwa v81, v52, v70 dst_sel:DWORD dst_unused:UNUSED_PAD src0_sel:DWORD src1_sel:WORD_1
	;; [unrolled: 1-line block ×3, first 2 shown]
	v_fma_f16 v25, v56, v69, -v4
	v_mul_f16_sdwa v4, v55, v74 dst_sel:DWORD dst_unused:UNUSED_PAD src0_sel:DWORD src1_sel:WORD_1
	v_mul_f16_sdwa v82, v32, v70 dst_sel:DWORD dst_unused:UNUSED_PAD src0_sel:DWORD src1_sel:WORD_1
	v_fma_f16 v51, v32, v70, v81
	v_fma_f16 v32, v38, v62, -v27
	v_fma_f16 v27, v28, v74, v4
	v_mul_f16_sdwa v4, v28, v74 dst_sel:DWORD dst_unused:UNUSED_PAD src0_sel:DWORD src1_sel:WORD_1
	v_fma_f16 v28, v55, v74, -v4
	v_mul_f16_sdwa v4, v37, v75 dst_sel:DWORD dst_unused:UNUSED_PAD src0_sel:DWORD src1_sel:WORD_1
	v_mul_f16_sdwa v81, v36, v66 dst_sel:DWORD dst_unused:UNUSED_PAD src0_sel:DWORD src1_sel:WORD_1
	v_fma_f16 v29, v26, v75, v4
	v_mul_f16_sdwa v4, v26, v75 dst_sel:DWORD dst_unused:UNUSED_PAD src0_sel:DWORD src1_sel:WORD_1
	v_fma_f16 v52, v52, v70, -v82
	v_mul_f16_sdwa v10, v38, v62 dst_sel:DWORD dst_unused:UNUSED_PAD src0_sel:DWORD src1_sel:WORD_1
	v_mul_f16_sdwa v58, v18, v64 dst_sel:DWORD dst_unused:UNUSED_PAD src0_sel:DWORD src1_sel:WORD_1
	;; [unrolled: 1-line block ×4, first 2 shown]
	v_fma_f16 v18, v16, v66, v81
	v_fma_f16 v26, v37, v75, -v4
	v_add_f16_e32 v4, v42, v53
	v_add_f16_e32 v16, v43, v51
	v_mul_f16_sdwa v70, v21, v72 dst_sel:DWORD dst_unused:UNUSED_PAD src0_sel:DWORD src1_sel:WORD_1
	v_fma_f16 v10, v22, v62, v10
	v_fma_f16 v38, v39, v65, -v60
	v_fma_f16 v39, v21, v72, v61
	v_fma_f16 v21, v36, v66, -v82
	v_fma_f16 v22, v9, v67, -v84
	v_sub_f16_e32 v9, v46, v54
	v_sub_f16_e32 v36, v47, v52
	v_add_f16_e32 v37, v44, v49
	v_sub_f16_e32 v55, v50, v48
	v_add_f16_e32 v56, v16, v4
	v_fma_f16 v34, v34, v64, -v58
	v_sub_f16_e32 v57, v16, v4
	v_sub_f16_e32 v4, v4, v37
	;; [unrolled: 1-line block ×3, first 2 shown]
	v_add_f16_e32 v58, v55, v36
	v_sub_f16_e32 v59, v55, v36
	v_sub_f16_e32 v36, v36, v9
	v_add_f16_e32 v37, v37, v56
	v_sub_f16_e32 v55, v9, v55
	v_add_f16_e32 v9, v58, v9
	v_add_f16_e32 v17, v17, v37
	v_mul_f16_e32 v4, 0x3a52, v4
	v_mul_f16_e32 v56, 0x2b26, v16
	;; [unrolled: 1-line block ×4, first 2 shown]
	v_fma_f16 v37, v37, s8, v17
	v_fma_f16 v16, v16, s7, v4
	v_fma_f16 v56, v57, s9, -v56
	v_fma_f16 v4, v57, s14, -v4
	v_fma_f16 v57, v55, s15, v58
	v_fma_f16 v36, v36, s6, -v58
	v_fma_f16 v55, v55, s17, -v59
	v_add_f16_e32 v16, v16, v37
	v_add_f16_e32 v56, v56, v37
	;; [unrolled: 1-line block ×3, first 2 shown]
	v_fma_f16 v37, v9, s16, v57
	v_fma_f16 v36, v9, s16, v36
	;; [unrolled: 1-line block ×3, first 2 shown]
	v_fma_f16 v40, v40, v72, -v70
	v_fma_f16 v45, v45, v73, -v80
	v_add_f16_e32 v57, v37, v16
	v_add_f16_e32 v58, v9, v4
	v_sub_f16_e32 v4, v4, v9
	v_sub_f16_e32 v9, v16, v37
	v_add_f16_e32 v16, v10, v41
	v_add_f16_e32 v55, v30, v39
	v_sub_f16_e32 v59, v56, v36
	v_add_f16_e32 v36, v36, v56
	v_sub_f16_e32 v37, v32, v45
	v_sub_f16_e32 v56, v33, v40
	v_add_f16_e32 v60, v31, v35
	v_sub_f16_e32 v61, v38, v34
	v_add_f16_e32 v62, v55, v16
	v_sub_f16_e32 v63, v55, v16
	v_sub_f16_e32 v16, v16, v60
	;; [unrolled: 1-line block ×3, first 2 shown]
	v_add_f16_e32 v64, v61, v56
	v_sub_f16_e32 v65, v61, v56
	v_sub_f16_e32 v56, v56, v37
	v_add_f16_e32 v60, v60, v62
	v_sub_f16_e32 v61, v37, v61
	v_add_f16_e32 v37, v64, v37
	v_add_f16_e32 v15, v15, v60
	v_mul_f16_e32 v16, 0x3a52, v16
	v_mul_f16_e32 v62, 0x2b26, v55
	;; [unrolled: 1-line block ×4, first 2 shown]
	v_fma_f16 v60, v60, s8, v15
	v_fma_f16 v55, v55, s7, v16
	v_fma_f16 v62, v63, s9, -v62
	v_fma_f16 v16, v63, s14, -v16
	v_fma_f16 v63, v61, s15, v64
	v_fma_f16 v56, v56, s6, -v64
	v_fma_f16 v61, v61, s17, -v65
	v_add_f16_e32 v55, v55, v60
	v_add_f16_e32 v62, v62, v60
	;; [unrolled: 1-line block ×3, first 2 shown]
	v_fma_f16 v60, v37, s16, v63
	v_fma_f16 v56, v37, s16, v56
	;; [unrolled: 1-line block ×3, first 2 shown]
	v_add_f16_e32 v61, v60, v55
	v_add_f16_e32 v63, v37, v16
	v_sub_f16_e32 v16, v16, v37
	v_sub_f16_e32 v37, v55, v60
	v_mov_b32_e32 v55, 0x3b8
	v_sub_f16_e32 v64, v62, v56
	v_add_f16_e32 v62, v56, v62
	v_cndmask_b32_e64 v55, 0, v55, s[2:3]
	v_lshlrev_b32_e32 v56, 1, v76
	v_add3_u32 v55, 0, v55, v56
	ds_write_b16 v55, v17
	ds_write_b16 v55, v57 offset:136
	ds_write_b16 v55, v58 offset:272
	;; [unrolled: 1-line block ×6, first 2 shown]
	v_mov_b32_e32 v9, 1
	v_mul_u32_u24_e32 v4, 0x3b8, v77
	v_lshlrev_b32_sdwa v9, v9, v78 dst_sel:DWORD dst_unused:UNUSED_PAD src0_sel:DWORD src1_sel:BYTE_0
	v_add3_u32 v56, 0, v4, v9
	ds_write_b16 v56, v15
	ds_write_b16 v56, v61 offset:136
	ds_write_b16 v56, v63 offset:272
	;; [unrolled: 1-line block ×6, first 2 shown]
	v_lshl_add_u32 v37, v79, 1, 0
	s_and_saveexec_b64 s[2:3], s[0:1]
	s_cbranch_execz .LBB0_21
; %bb.20:
	v_add_f16_e32 v4, v18, v29
	v_add_f16_e32 v16, v19, v27
	;; [unrolled: 1-line block ×4, first 2 shown]
	v_sub_f16_e32 v15, v4, v9
	v_sub_f16_e32 v17, v9, v16
	v_add_f16_e32 v9, v9, v57
	v_sub_f16_e32 v57, v21, v26
	v_sub_f16_e32 v58, v25, v23
	;; [unrolled: 1-line block ×5, first 2 shown]
	v_add_f16_e32 v58, v58, v60
	v_sub_f16_e32 v4, v16, v4
	v_sub_f16_e32 v16, v60, v57
	v_mul_f16_e32 v15, 0x3a52, v15
	v_mul_f16_e32 v36, 0x2b26, v17
	v_add_f16_e32 v12, v12, v9
	v_mul_f16_e32 v61, 0x3846, v61
	v_add_f16_e32 v58, v58, v57
	v_mul_f16_e32 v57, 0xbb00, v16
	v_fma_f16 v17, v17, s7, v15
	v_fma_f16 v9, v9, s8, v12
	;; [unrolled: 1-line block ×3, first 2 shown]
	v_fma_f16 v15, v4, s14, -v15
	v_fma_f16 v57, v59, s17, -v57
	;; [unrolled: 1-line block ×4, first 2 shown]
	v_add_f16_e32 v17, v17, v9
	v_fma_f16 v62, v58, s16, v62
	v_add_f16_e32 v15, v15, v9
	v_fma_f16 v57, v58, s16, v57
	v_fma_f16 v16, v58, s16, v16
	v_add_f16_e32 v4, v4, v9
	v_sub_f16_e32 v63, v17, v62
	v_sub_f16_e32 v59, v15, v57
	v_add_f16_e32 v9, v16, v4
	v_sub_f16_e32 v4, v4, v16
	v_add_f16_e32 v15, v57, v15
	v_add_f16_e32 v16, v62, v17
	ds_write_b16 v37, v12 offset:2856
	ds_write_b16 v37, v16 offset:2992
	;; [unrolled: 1-line block ×7, first 2 shown]
.LBB0_21:
	s_or_b64 exec, exec, s[2:3]
	v_add_f16_e32 v4, v46, v54
	v_add_f16_e32 v12, v47, v52
	v_sub_f16_e32 v9, v42, v53
	v_sub_f16_e32 v15, v43, v51
	v_add_f16_e32 v16, v48, v50
	v_sub_f16_e32 v17, v49, v44
	v_add_f16_e32 v36, v12, v4
	v_sub_f16_e32 v42, v12, v4
	v_sub_f16_e32 v4, v4, v16
	;; [unrolled: 1-line block ×3, first 2 shown]
	v_add_f16_e32 v43, v17, v15
	v_sub_f16_e32 v44, v17, v15
	v_sub_f16_e32 v15, v15, v9
	v_add_f16_e32 v16, v16, v36
	v_sub_f16_e32 v17, v9, v17
	v_add_f16_e32 v9, v43, v9
	v_add_f16_e32 v43, v14, v16
	v_mul_f16_e32 v4, 0x3a52, v4
	v_mul_f16_e32 v14, 0x2b26, v12
	;; [unrolled: 1-line block ×4, first 2 shown]
	v_fma_f16 v16, v16, s8, v43
	v_fma_f16 v12, v12, s7, v4
	v_fma_f16 v14, v42, s9, -v14
	v_fma_f16 v4, v42, s14, -v4
	v_fma_f16 v42, v17, s15, v36
	v_fma_f16 v15, v15, s6, -v36
	v_fma_f16 v17, v17, s17, -v44
	v_add_f16_e32 v12, v12, v16
	v_add_f16_e32 v14, v14, v16
	;; [unrolled: 1-line block ×3, first 2 shown]
	v_fma_f16 v16, v9, s16, v42
	v_fma_f16 v15, v9, s16, v15
	;; [unrolled: 1-line block ×3, first 2 shown]
	v_sub_f16_e32 v44, v4, v9
	v_add_f16_e32 v48, v9, v4
	v_add_f16_e32 v4, v32, v45
	v_sub_f16_e32 v9, v10, v41
	v_add_f16_e32 v10, v33, v40
	v_sub_f16_e32 v42, v12, v16
	;; [unrolled: 2-line block ×6, first 2 shown]
	v_sub_f16_e32 v4, v4, v14
	v_sub_f16_e32 v10, v14, v10
	v_add_f16_e32 v30, v15, v12
	v_sub_f16_e32 v31, v15, v12
	v_sub_f16_e32 v12, v12, v9
	v_add_f16_e32 v14, v14, v16
	v_sub_f16_e32 v15, v9, v15
	v_add_f16_e32 v9, v30, v9
	v_add_f16_e32 v38, v13, v14
	v_mul_f16_e32 v4, 0x3a52, v4
	v_mul_f16_e32 v13, 0x2b26, v10
	;; [unrolled: 1-line block ×4, first 2 shown]
	v_fma_f16 v14, v14, s8, v38
	v_fma_f16 v10, v10, s7, v4
	v_fma_f16 v13, v17, s9, -v13
	v_fma_f16 v4, v17, s14, -v4
	v_fma_f16 v17, v15, s15, v16
	v_fma_f16 v12, v12, s6, -v16
	v_fma_f16 v15, v15, s17, -v30
	v_add_f16_e32 v10, v10, v14
	v_add_f16_e32 v13, v13, v14
	;; [unrolled: 1-line block ×3, first 2 shown]
	v_fma_f16 v14, v9, s16, v17
	v_fma_f16 v12, v9, s16, v12
	;; [unrolled: 1-line block ×3, first 2 shown]
	v_sub_f16_e32 v39, v10, v14
	v_sub_f16_e32 v40, v4, v9
	v_add_f16_e32 v41, v12, v13
	v_sub_f16_e32 v45, v13, v12
	v_add_f16_e32 v50, v9, v4
	v_add_f16_e32 v51, v14, v10
	s_waitcnt lgkmcnt(0)
	s_barrier
	ds_read_u16 v4, v0
	ds_read_u16 v13, v0 offset:238
	ds_read_u16 v17, v0 offset:476
	;; [unrolled: 1-line block ×15, first 2 shown]
	s_waitcnt lgkmcnt(0)
	s_barrier
	ds_write_b16 v55, v43
	ds_write_b16 v55, v42 offset:136
	ds_write_b16 v55, v44 offset:272
	;; [unrolled: 1-line block ×6, first 2 shown]
	ds_write_b16 v56, v38
	ds_write_b16 v56, v39 offset:136
	ds_write_b16 v56, v40 offset:272
	;; [unrolled: 1-line block ×6, first 2 shown]
	s_and_saveexec_b64 s[2:3], s[0:1]
	s_cbranch_execz .LBB0_23
; %bb.22:
	v_add_f16_e32 v21, v21, v26
	v_add_f16_e32 v22, v22, v28
	;; [unrolled: 1-line block ×3, first 2 shown]
	v_sub_f16_e32 v20, v24, v20
	v_add_f16_e32 v24, v22, v21
	v_sub_f16_e32 v25, v22, v21
	v_sub_f16_e32 v21, v21, v23
	;; [unrolled: 1-line block ×3, first 2 shown]
	v_mul_f16_e32 v21, 0x3a52, v21
	s_movk_i32 s0, 0x2b26
	v_sub_f16_e32 v19, v19, v27
	v_add_f16_e32 v23, v23, v24
	v_mul_f16_e32 v24, 0x2b26, v22
	v_fma_f16 v22, v22, s0, v21
	s_movk_i32 s0, 0x39e0
	v_sub_f16_e32 v18, v18, v29
	v_add_f16_e32 v26, v20, v19
	v_sub_f16_e32 v27, v20, v19
	v_fma_f16 v24, v25, s0, -v24
	s_mov_b32 s0, 0xb9e0
	v_sub_f16_e32 v20, v18, v20
	v_sub_f16_e32 v19, v19, v18
	v_add_f16_e32 v18, v26, v18
	v_mul_f16_e32 v26, 0x3846, v27
	v_fma_f16 v21, v25, s0, -v21
	s_mov_b32 s0, 0xb574
	v_add_f16_e32 v11, v11, v23
	s_mov_b32 s1, 0xbb00
	v_mul_f16_e32 v27, 0xbb00, v19
	s_mov_b32 s6, 0xbcab
	v_fma_f16 v25, v20, s0, v26
	s_movk_i32 s0, 0x3574
	v_fma_f16 v23, v23, s6, v11
	v_fma_f16 v19, v19, s1, -v26
	v_fma_f16 v20, v20, s0, -v27
	s_mov_b32 s0, 0xb70e
	v_add_f16_e32 v22, v22, v23
	v_add_f16_e32 v24, v24, v23
	;; [unrolled: 1-line block ×3, first 2 shown]
	v_fma_f16 v23, v18, s0, v25
	v_fma_f16 v19, v18, s0, v19
	;; [unrolled: 1-line block ×3, first 2 shown]
	v_sub_f16_e32 v20, v22, v23
	v_sub_f16_e32 v25, v21, v18
	v_add_f16_e32 v26, v19, v24
	v_sub_f16_e32 v19, v24, v19
	v_add_f16_e32 v18, v18, v21
	v_add_f16_e32 v21, v23, v22
	ds_write_b16 v37, v11 offset:2856
	ds_write_b16 v37, v20 offset:2992
	ds_write_b16 v37, v25 offset:3128
	ds_write_b16 v37, v26 offset:3264
	ds_write_b16 v37, v19 offset:3400
	ds_write_b16 v37, v18 offset:3536
	ds_write_b16 v37, v21 offset:3672
.LBB0_23:
	s_or_b64 exec, exec, s[2:3]
	s_waitcnt lgkmcnt(0)
	s_barrier
	s_and_saveexec_b64 s[0:1], vcc
	s_cbranch_execz .LBB0_25
; %bb.24:
	v_mul_u32_u24_e32 v11, 3, v7
	v_lshlrev_b32_e32 v11, 2, v11
	global_load_dwordx3 v[18:20], v11, s[12:13] offset:1836
	v_mov_b32_e32 v11, 0xfffffe9b
	v_mov_b32_e32 v38, 0
	v_mad_u32_u24 v37, v7, 3, v11
	v_lshlrev_b64 v[21:22], 2, v[37:38]
	v_mov_b32_e32 v26, s13
	v_add_co_u32_e32 v21, vcc, s12, v21
	v_mov_b32_e32 v24, 0xfffffd36
	v_addc_co_u32_e32 v22, vcc, v26, v22, vcc
	v_mad_u32_u24 v37, v7, 3, v24
	global_load_dwordx3 v[21:23], v[21:22], off offset:1836
	v_lshlrev_b64 v[24:25], 2, v[37:38]
	v_mul_lo_u32 v11, s5, v5
	v_add_co_u32_e32 v24, vcc, s12, v24
	v_addc_co_u32_e32 v25, vcc, v26, v25, vcc
	global_load_dwordx3 v[24:26], v[24:25], off offset:1836
	v_mul_lo_u32 v27, s4, v6
	v_mad_u64_u32 v[5:6], s[0:1], s4, v5, 0
	v_mul_u32_u24_e32 v28, 3, v3
	v_lshlrev_b32_e32 v28, 2, v28
	ds_read_u16 v37, v0 offset:1666
	ds_read_u16 v39, v0 offset:1428
	;; [unrolled: 1-line block ×11, first 2 shown]
	v_add3_u32 v6, v6, v27, v11
	global_load_dwordx3 v[27:29], v28, s[12:13] offset:1836
	ds_read_u16 v51, v0 offset:2618
	ds_read_u16 v55, v0 offset:2380
	v_lshlrev_b64 v[5:6], 2, v[5:6]
	s_movk_i32 s0, 0x1000
	v_add_co_u32_e32 v5, vcc, s10, v5
	s_mov_b32 s1, 0x44d72045
	s_movk_i32 s2, 0x3b8
	s_waitcnt vmcnt(3)
	v_lshrrev_b32_e32 v11, 16, v19
	v_mul_f16_e32 v49, v36, v19
	v_mul_f16_sdwa v50, v34, v18 dst_sel:DWORD dst_unused:UNUSED_PAD src0_sel:DWORD src1_sel:WORD_1
	v_mul_f16_sdwa v52, v35, v20 dst_sel:DWORD dst_unused:UNUSED_PAD src0_sel:DWORD src1_sel:WORD_1
	s_waitcnt lgkmcnt(12)
	v_mul_f16_sdwa v53, v37, v18 dst_sel:DWORD dst_unused:UNUSED_PAD src0_sel:DWORD src1_sel:WORD_1
	s_waitcnt lgkmcnt(5)
	;; [unrolled: 2-line block ×3, first 2 shown]
	v_fma_f16 v49, v51, v11, v49
	v_fma_f16 v37, v37, v18, -v50
	v_fma_f16 v45, v45, v20, -v52
	ds_read_u16 v52, v0 offset:2142
	v_mul_f16_e32 v11, v36, v11
	v_fma_f16 v18, v34, v18, v53
	v_fma_f16 v20, v35, v20, v54
	v_sub_f16_e32 v34, v33, v49
	v_sub_f16_e32 v35, v37, v45
	v_fma_f16 v11, v51, v19, -v11
	v_sub_f16_e32 v19, v18, v20
	v_add_f16_e32 v20, v34, v35
	v_sub_f16_e32 v11, v42, v11
	v_fma_f16 v33, v33, 2.0, -v34
	v_fma_f16 v18, v18, 2.0, -v19
	;; [unrolled: 1-line block ×3, first 2 shown]
	s_waitcnt vmcnt(2)
	v_lshrrev_b32_e32 v36, 16, v22
	v_mul_f16_e32 v37, v30, v22
	v_mul_f16_sdwa v45, v31, v21 dst_sel:DWORD dst_unused:UNUSED_PAD src0_sel:DWORD src1_sel:WORD_1
	v_mul_f16_sdwa v49, v32, v23 dst_sel:DWORD dst_unused:UNUSED_PAD src0_sel:DWORD src1_sel:WORD_1
	;; [unrolled: 1-line block ×4, first 2 shown]
	v_sub_f16_e32 v18, v33, v18
	v_fma_f16 v42, v42, 2.0, -v11
	s_waitcnt lgkmcnt(1)
	v_fma_f16 v37, v55, v36, v37
	v_fma_f16 v39, v39, v21, -v45
	v_fma_f16 v45, v46, v23, -v49
	v_mul_f16_e32 v30, v30, v36
	v_fma_f16 v21, v31, v21, v50
	v_fma_f16 v23, v32, v23, v51
	v_sub_f16_e32 v31, v42, v35
	v_fma_f16 v32, v33, 2.0, -v18
	v_sub_f16_e32 v33, v17, v37
	ds_read_u16 v37, v0 offset:1904
	v_sub_f16_e32 v35, v39, v45
	v_fma_f16 v22, v55, v22, -v30
	v_add_f16_e32 v36, v33, v35
	v_fma_f16 v30, v42, 2.0, -v31
	v_sub_f16_e32 v22, v43, v22
	v_fma_f16 v42, v33, 2.0, -v36
	v_sub_f16_e32 v23, v21, v23
	v_fma_f16 v17, v17, 2.0, -v33
	s_waitcnt vmcnt(1)
	v_lshrrev_b32_e32 v33, 16, v25
	v_sub_f16_e32 v45, v22, v23
	v_fma_f16 v21, v21, 2.0, -v23
	v_fma_f16 v23, v39, 2.0, -v35
	v_mul_f16_e32 v35, v16, v25
	v_mul_f16_e32 v16, v16, v33
	v_fma_f16 v46, v22, 2.0, -v45
	v_fma_f16 v22, v43, 2.0, -v22
	v_mul_f16_sdwa v39, v14, v24 dst_sel:DWORD dst_unused:UNUSED_PAD src0_sel:DWORD src1_sel:WORD_1
	v_mul_f16_sdwa v43, v15, v26 dst_sel:DWORD dst_unused:UNUSED_PAD src0_sel:DWORD src1_sel:WORD_1
	s_waitcnt lgkmcnt(1)
	v_fma_f16 v16, v52, v25, -v16
	v_mul_f16_sdwa v25, v40, v24 dst_sel:DWORD dst_unused:UNUSED_PAD src0_sel:DWORD src1_sel:WORD_1
	v_fma_f16 v35, v52, v33, v35
	v_fma_f16 v39, v40, v24, -v39
	v_fma_f16 v43, v47, v26, -v43
	ds_read_u16 v0, v0
	v_fma_f16 v14, v14, v24, v25
	v_mul_f16_sdwa v24, v47, v26 dst_sel:DWORD dst_unused:UNUSED_PAD src0_sel:DWORD src1_sel:WORD_1
	v_sub_f16_e32 v35, v13, v35
	v_sub_f16_e32 v43, v39, v43
	v_fma_f16 v15, v15, v26, v24
	s_waitcnt vmcnt(0)
	v_lshrrev_b32_e32 v26, 16, v28
	v_mul_f16_e32 v33, v9, v28
	v_add_f16_e32 v49, v35, v43
	v_sub_f16_e32 v16, v44, v16
	v_sub_f16_e32 v15, v14, v15
	s_waitcnt lgkmcnt(1)
	v_fma_f16 v33, v37, v26, v33
	v_mul_f16_e32 v9, v9, v26
	v_mul_f16_sdwa v26, v41, v27 dst_sel:DWORD dst_unused:UNUSED_PAD src0_sel:DWORD src1_sel:WORD_1
	v_fma_f16 v50, v35, 2.0, -v49
	v_sub_f16_e32 v24, v16, v15
	v_fma_f16 v13, v13, 2.0, -v35
	v_mul_f16_sdwa v35, v10, v27 dst_sel:DWORD dst_unused:UNUSED_PAD src0_sel:DWORD src1_sel:WORD_1
	v_fma_f16 v10, v10, v27, v26
	v_mul_f16_sdwa v26, v48, v29 dst_sel:DWORD dst_unused:UNUSED_PAD src0_sel:DWORD src1_sel:WORD_1
	v_fma_f16 v25, v16, 2.0, -v24
	v_fma_f16 v14, v14, 2.0, -v15
	;; [unrolled: 1-line block ×4, first 2 shown]
	v_mul_f16_sdwa v39, v12, v29 dst_sel:DWORD dst_unused:UNUSED_PAD src0_sel:DWORD src1_sel:WORD_1
	v_fma_f16 v9, v37, v28, -v9
	v_fma_f16 v12, v12, v29, v26
	v_fma_f16 v35, v41, v27, -v35
	v_fma_f16 v39, v48, v29, -v39
	s_waitcnt lgkmcnt(0)
	v_sub_f16_e32 v9, v0, v9
	v_sub_f16_e32 v12, v10, v12
	;; [unrolled: 1-line block ×4, first 2 shown]
	v_fma_f16 v27, v9, 2.0, -v26
	v_fma_f16 v0, v0, 2.0, -v9
	;; [unrolled: 1-line block ×3, first 2 shown]
	v_sub_f16_e32 v9, v0, v9
	v_sub_f16_e32 v33, v4, v33
	v_fma_f16 v28, v0, 2.0, -v9
	v_mov_b32_e32 v0, s11
	v_fma_f16 v4, v4, 2.0, -v33
	v_fma_f16 v10, v10, 2.0, -v12
	v_addc_co_u32_e32 v6, vcc, v0, v6, vcc
	v_lshlrev_b64 v[0:1], 2, v[1:2]
	v_sub_f16_e32 v10, v4, v10
	v_fma_f16 v12, v4, 2.0, -v10
	v_mov_b32_e32 v4, v38
	v_add_co_u32_e32 v2, vcc, v5, v0
	v_addc_co_u32_e32 v5, vcc, v6, v1, vcc
	v_lshlrev_b64 v[0:1], 2, v[3:4]
	v_add_f16_e32 v40, v33, v39
	v_add_co_u32_e32 v0, vcc, v2, v0
	v_fma_f16 v43, v33, 2.0, -v40
	v_addc_co_u32_e32 v1, vcc, v5, v1, vcc
	v_pack_b32_f16 v2, v12, v28
	global_store_dword v[0:1], v2, off
	v_pack_b32_f16 v2, v43, v27
	global_store_dword v[0:1], v2, off offset:1904
	v_pack_b32_f16 v2, v10, v9
	v_sub_f16_e32 v14, v13, v14
	v_sub_f16_e32 v16, v15, v16
	global_store_dword v[0:1], v2, off offset:3808
	v_add_co_u32_e32 v2, vcc, s0, v0
	v_fma_f16 v13, v13, 2.0, -v14
	v_fma_f16 v15, v15, 2.0, -v16
	v_pack_b32_f16 v4, v40, v26
	v_addc_co_u32_e32 v3, vcc, 0, v1, vcc
	global_store_dword v[2:3], v4, off offset:1616
	v_pack_b32_f16 v4, v13, v15
	v_mul_hi_u32 v5, v8, s1
	global_store_dword v[0:1], v4, off offset:476
	v_pack_b32_f16 v4, v50, v25
	global_store_dword v[0:1], v4, off offset:2380
	v_pack_b32_f16 v4, v14, v16
	;; [unrolled: 2-line block ×3, first 2 shown]
	global_store_dword v[2:3], v4, off offset:2092
	v_lshrrev_b32_e32 v2, 7, v5
	v_mul_u32_u24_e32 v37, 0x594, v2
	v_lshlrev_b64 v[2:3], 2, v[37:38]
	v_sub_f16_e32 v21, v17, v21
	v_sub_f16_e32 v23, v22, v23
	v_fma_f16 v17, v17, 2.0, -v21
	v_fma_f16 v22, v22, 2.0, -v23
	v_add_co_u32_e32 v2, vcc, v0, v2
	v_addc_co_u32_e32 v3, vcc, v1, v3, vcc
	v_pack_b32_f16 v6, v17, v22
	v_add_co_u32_e32 v4, vcc, s2, v2
	global_store_dword v[2:3], v6, off offset:952
	v_pack_b32_f16 v6, v42, v46
	v_addc_co_u32_e32 v5, vcc, 0, v3, vcc
	global_store_dword v[2:3], v6, off offset:2856
	v_pack_b32_f16 v6, v21, v23
	global_store_dword v[4:5], v6, off offset:3808
	v_mul_hi_u32 v5, v7, s1
	v_add_co_u32_e32 v2, vcc, s0, v2
	v_pack_b32_f16 v4, v36, v45
	v_addc_co_u32_e32 v3, vcc, 0, v3, vcc
	global_store_dword v[2:3], v4, off offset:2568
	v_lshrrev_b32_e32 v2, 7, v5
	v_mul_u32_u24_e32 v37, 0x594, v2
	v_lshlrev_b64 v[2:3], 2, v[37:38]
	v_sub_f16_e32 v19, v11, v19
	v_add_co_u32_e32 v0, vcc, v0, v2
	v_addc_co_u32_e32 v1, vcc, v1, v3, vcc
	v_fma_f16 v34, v34, 2.0, -v20
	v_fma_f16 v11, v11, 2.0, -v19
	v_add_co_u32_e32 v2, vcc, 0x594, v0
	v_pack_b32_f16 v4, v32, v30
	v_addc_co_u32_e32 v3, vcc, 0, v1, vcc
	global_store_dword v[0:1], v4, off offset:1428
	v_pack_b32_f16 v4, v34, v11
	global_store_dword v[0:1], v4, off offset:3332
	v_pack_b32_f16 v4, v18, v31
	v_add_co_u32_e32 v0, vcc, 0x1000, v0
	global_store_dword v[2:3], v4, off offset:3808
	v_pack_b32_f16 v2, v20, v19
	v_addc_co_u32_e32 v1, vcc, 0, v1, vcc
	global_store_dword v[0:1], v2, off offset:3044
.LBB0_25:
	s_endpgm
	.section	.rodata,"a",@progbits
	.p2align	6, 0x0
	.amdhsa_kernel fft_rtc_back_len1904_factors_17_2_2_7_4_wgs_119_tpt_119_halfLds_half_op_CI_CI_unitstride_sbrr_dirReg
		.amdhsa_group_segment_fixed_size 0
		.amdhsa_private_segment_fixed_size 0
		.amdhsa_kernarg_size 104
		.amdhsa_user_sgpr_count 6
		.amdhsa_user_sgpr_private_segment_buffer 1
		.amdhsa_user_sgpr_dispatch_ptr 0
		.amdhsa_user_sgpr_queue_ptr 0
		.amdhsa_user_sgpr_kernarg_segment_ptr 1
		.amdhsa_user_sgpr_dispatch_id 0
		.amdhsa_user_sgpr_flat_scratch_init 0
		.amdhsa_user_sgpr_private_segment_size 0
		.amdhsa_uses_dynamic_stack 0
		.amdhsa_system_sgpr_private_segment_wavefront_offset 0
		.amdhsa_system_sgpr_workgroup_id_x 1
		.amdhsa_system_sgpr_workgroup_id_y 0
		.amdhsa_system_sgpr_workgroup_id_z 0
		.amdhsa_system_sgpr_workgroup_info 0
		.amdhsa_system_vgpr_workitem_id 0
		.amdhsa_next_free_vgpr 93
		.amdhsa_next_free_sgpr 34
		.amdhsa_reserve_vcc 1
		.amdhsa_reserve_flat_scratch 0
		.amdhsa_float_round_mode_32 0
		.amdhsa_float_round_mode_16_64 0
		.amdhsa_float_denorm_mode_32 3
		.amdhsa_float_denorm_mode_16_64 3
		.amdhsa_dx10_clamp 1
		.amdhsa_ieee_mode 1
		.amdhsa_fp16_overflow 0
		.amdhsa_exception_fp_ieee_invalid_op 0
		.amdhsa_exception_fp_denorm_src 0
		.amdhsa_exception_fp_ieee_div_zero 0
		.amdhsa_exception_fp_ieee_overflow 0
		.amdhsa_exception_fp_ieee_underflow 0
		.amdhsa_exception_fp_ieee_inexact 0
		.amdhsa_exception_int_div_zero 0
	.end_amdhsa_kernel
	.text
.Lfunc_end0:
	.size	fft_rtc_back_len1904_factors_17_2_2_7_4_wgs_119_tpt_119_halfLds_half_op_CI_CI_unitstride_sbrr_dirReg, .Lfunc_end0-fft_rtc_back_len1904_factors_17_2_2_7_4_wgs_119_tpt_119_halfLds_half_op_CI_CI_unitstride_sbrr_dirReg
                                        ; -- End function
	.section	.AMDGPU.csdata,"",@progbits
; Kernel info:
; codeLenInByte = 14280
; NumSgprs: 38
; NumVgprs: 93
; ScratchSize: 0
; MemoryBound: 0
; FloatMode: 240
; IeeeMode: 1
; LDSByteSize: 0 bytes/workgroup (compile time only)
; SGPRBlocks: 4
; VGPRBlocks: 23
; NumSGPRsForWavesPerEU: 38
; NumVGPRsForWavesPerEU: 93
; Occupancy: 2
; WaveLimiterHint : 1
; COMPUTE_PGM_RSRC2:SCRATCH_EN: 0
; COMPUTE_PGM_RSRC2:USER_SGPR: 6
; COMPUTE_PGM_RSRC2:TRAP_HANDLER: 0
; COMPUTE_PGM_RSRC2:TGID_X_EN: 1
; COMPUTE_PGM_RSRC2:TGID_Y_EN: 0
; COMPUTE_PGM_RSRC2:TGID_Z_EN: 0
; COMPUTE_PGM_RSRC2:TIDIG_COMP_CNT: 0
	.type	__hip_cuid_e8142e384b53531f,@object ; @__hip_cuid_e8142e384b53531f
	.section	.bss,"aw",@nobits
	.globl	__hip_cuid_e8142e384b53531f
__hip_cuid_e8142e384b53531f:
	.byte	0                               ; 0x0
	.size	__hip_cuid_e8142e384b53531f, 1

	.ident	"AMD clang version 19.0.0git (https://github.com/RadeonOpenCompute/llvm-project roc-6.4.0 25133 c7fe45cf4b819c5991fe208aaa96edf142730f1d)"
	.section	".note.GNU-stack","",@progbits
	.addrsig
	.addrsig_sym __hip_cuid_e8142e384b53531f
	.amdgpu_metadata
---
amdhsa.kernels:
  - .args:
      - .actual_access:  read_only
        .address_space:  global
        .offset:         0
        .size:           8
        .value_kind:     global_buffer
      - .offset:         8
        .size:           8
        .value_kind:     by_value
      - .actual_access:  read_only
        .address_space:  global
        .offset:         16
        .size:           8
        .value_kind:     global_buffer
      - .actual_access:  read_only
        .address_space:  global
        .offset:         24
        .size:           8
        .value_kind:     global_buffer
      - .actual_access:  read_only
        .address_space:  global
        .offset:         32
        .size:           8
        .value_kind:     global_buffer
      - .offset:         40
        .size:           8
        .value_kind:     by_value
      - .actual_access:  read_only
        .address_space:  global
        .offset:         48
        .size:           8
        .value_kind:     global_buffer
      - .actual_access:  read_only
        .address_space:  global
        .offset:         56
        .size:           8
        .value_kind:     global_buffer
      - .offset:         64
        .size:           4
        .value_kind:     by_value
      - .actual_access:  read_only
        .address_space:  global
        .offset:         72
        .size:           8
        .value_kind:     global_buffer
      - .actual_access:  read_only
        .address_space:  global
        .offset:         80
        .size:           8
        .value_kind:     global_buffer
      - .actual_access:  read_only
        .address_space:  global
        .offset:         88
        .size:           8
        .value_kind:     global_buffer
      - .actual_access:  write_only
        .address_space:  global
        .offset:         96
        .size:           8
        .value_kind:     global_buffer
    .group_segment_fixed_size: 0
    .kernarg_segment_align: 8
    .kernarg_segment_size: 104
    .language:       OpenCL C
    .language_version:
      - 2
      - 0
    .max_flat_workgroup_size: 119
    .name:           fft_rtc_back_len1904_factors_17_2_2_7_4_wgs_119_tpt_119_halfLds_half_op_CI_CI_unitstride_sbrr_dirReg
    .private_segment_fixed_size: 0
    .sgpr_count:     38
    .sgpr_spill_count: 0
    .symbol:         fft_rtc_back_len1904_factors_17_2_2_7_4_wgs_119_tpt_119_halfLds_half_op_CI_CI_unitstride_sbrr_dirReg.kd
    .uniform_work_group_size: 1
    .uses_dynamic_stack: false
    .vgpr_count:     93
    .vgpr_spill_count: 0
    .wavefront_size: 64
amdhsa.target:   amdgcn-amd-amdhsa--gfx906
amdhsa.version:
  - 1
  - 2
...

	.end_amdgpu_metadata
